;; amdgpu-corpus repo=ROCm/rocFFT kind=compiled arch=gfx1030 opt=O3
	.text
	.amdgcn_target "amdgcn-amd-amdhsa--gfx1030"
	.amdhsa_code_object_version 6
	.protected	bluestein_single_fwd_len1100_dim1_half_op_CI_CI ; -- Begin function bluestein_single_fwd_len1100_dim1_half_op_CI_CI
	.globl	bluestein_single_fwd_len1100_dim1_half_op_CI_CI
	.p2align	8
	.type	bluestein_single_fwd_len1100_dim1_half_op_CI_CI,@function
bluestein_single_fwd_len1100_dim1_half_op_CI_CI: ; @bluestein_single_fwd_len1100_dim1_half_op_CI_CI
; %bb.0:
	s_load_dwordx4 s[12:15], s[4:5], 0x28
	v_mul_u32_u24_e32 v1, 0x254, v0
	v_mov_b32_e32 v25, 0
	s_mov_b32 s0, exec_lo
	v_lshrrev_b32_e32 v1, 16, v1
	v_add_nc_u32_e32 v24, s6, v1
	s_waitcnt lgkmcnt(0)
	v_cmpx_gt_u64_e64 s[12:13], v[24:25]
	s_cbranch_execz .LBB0_10
; %bb.1:
	s_clause 0x1
	s_load_dwordx4 s[8:11], s[4:5], 0x18
	s_load_dwordx4 s[0:3], s[4:5], 0x0
	v_mul_lo_u16 v1, 0x6e, v1
	s_load_dwordx2 s[4:5], s[4:5], 0x38
                                        ; implicit-def: $vgpr69
                                        ; implicit-def: $vgpr70
	v_sub_nc_u16 v17, v0, v1
	v_and_b32_e32 v45, 0xffff, v17
	v_lshlrev_b32_e32 v48, 2, v45
	v_lshlrev_b32_e32 v29, 3, v45
	s_waitcnt lgkmcnt(0)
	s_load_dwordx4 s[16:19], s[8:9], 0x0
	v_add_co_u32 v6, s6, s0, v48
	v_add_co_ci_u32_e64 v7, null, s1, 0, s6
	v_add_nc_u32_e32 v19, 0xa00, v48
	v_add_nc_u32_e32 v20, 0x600, v48
	s_waitcnt lgkmcnt(0)
	v_mad_u64_u32 v[0:1], null, s18, v24, 0
	v_mad_u64_u32 v[2:3], null, s16, v45, 0
	s_mul_i32 s6, s17, 0x898
	s_mul_hi_u32 s7, s16, 0x898
	s_mul_i32 s8, s16, 0x898
	s_add_i32 s7, s7, s6
	s_mul_hi_u32 s12, s16, 0xfffff920
	s_mul_i32 s9, s17, 0xfffff920
	v_mad_u64_u32 v[4:5], null, s19, v24, v[1:2]
	v_add_co_u32 v5, vcc_lo, 0x800, v6
	v_add_co_ci_u32_e32 v6, vcc_lo, 0, v7, vcc_lo
	s_clause 0x1
	global_load_dword v47, v48, s[0:1]
	global_load_dword v46, v[5:6], off offset:152
	v_mad_u64_u32 v[7:8], null, s17, v45, v[3:4]
	v_mov_b32_e32 v1, v4
	s_mul_i32 s13, s16, 0xfffff920
	s_sub_i32 s6, s12, s16
	s_add_i32 s6, s6, s9
	v_lshlrev_b64 v[0:1], 2, v[0:1]
	v_mov_b32_e32 v3, v7
	v_add_co_u32 v0, vcc_lo, s14, v0
	v_lshlrev_b64 v[2:3], 2, v[2:3]
	v_add_co_ci_u32_e32 v1, vcc_lo, s15, v1, vcc_lo
	v_add_co_u32 v0, vcc_lo, v0, v2
	v_add_co_ci_u32_e32 v1, vcc_lo, v1, v3, vcc_lo
	v_add_co_u32 v2, vcc_lo, v0, s8
	v_add_co_ci_u32_e32 v3, vcc_lo, s7, v1, vcc_lo
	s_clause 0x1
	global_load_dword v4, v[0:1], off
	global_load_dword v7, v[2:3], off
	v_add_co_u32 v0, vcc_lo, v2, s13
	v_add_co_ci_u32_e32 v1, vcc_lo, s6, v3, vcc_lo
	v_add_co_u32 v2, vcc_lo, v0, s8
	v_add_co_ci_u32_e32 v3, vcc_lo, s7, v1, vcc_lo
	global_load_dword v8, v[0:1], off
	s_clause 0x2
	global_load_dword v44, v48, s[0:1] offset:440
	global_load_dword v42, v48, s[0:1] offset:880
	;; [unrolled: 1-line block ×3, first 2 shown]
	global_load_dword v9, v[2:3], off
	v_add_co_u32 v0, vcc_lo, v2, s13
	v_add_co_ci_u32_e32 v1, vcc_lo, s6, v3, vcc_lo
	s_clause 0x1
	global_load_dword v43, v[5:6], off offset:592
	global_load_dword v41, v[5:6], off offset:1032
	v_add_co_u32 v2, vcc_lo, v0, s8
	v_add_co_ci_u32_e32 v3, vcc_lo, s7, v1, vcc_lo
	global_load_dword v10, v[0:1], off
	v_add_co_u32 v0, vcc_lo, v2, s13
	v_add_co_ci_u32_e32 v1, vcc_lo, s6, v3, vcc_lo
	global_load_dword v11, v[2:3], off
	;; [unrolled: 3-line block ×4, first 2 shown]
	v_add_co_u32 v2, vcc_lo, v0, s8
	v_add_co_ci_u32_e32 v3, vcc_lo, s7, v1, vcc_lo
	global_load_dword v39, v[5:6], off offset:1472
	global_load_dword v14, v[0:1], off
	global_load_dword v2, v[2:3], off
	s_clause 0x1
	global_load_dword v38, v48, s[0:1] offset:1760
	global_load_dword v37, v[5:6], off offset:1912
	v_add_nc_u32_e32 v1, 0x200, v48
	v_add_nc_u32_e32 v0, 0xc00, v48
	s_load_dwordx4 s[8:11], s[10:11], 0x0
	v_cmp_gt_u16_e32 vcc_lo, 0x64, v17
	s_waitcnt vmcnt(17)
	v_lshrrev_b32_e32 v3, 16, v4
	v_mul_f16_sdwa v5, v47, v4 dst_sel:DWORD dst_unused:UNUSED_PAD src0_sel:WORD_1 src1_sel:DWORD
	s_waitcnt vmcnt(16)
	v_lshrrev_b32_e32 v15, 16, v7
	v_mul_f16_sdwa v16, v46, v7 dst_sel:DWORD dst_unused:UNUSED_PAD src0_sel:WORD_1 src1_sel:DWORD
	v_mul_f16_sdwa v6, v47, v3 dst_sel:DWORD dst_unused:UNUSED_PAD src0_sel:WORD_1 src1_sel:DWORD
	v_fma_f16 v3, v47, v3, -v5
	s_waitcnt vmcnt(15)
	v_lshrrev_b32_e32 v5, 16, v8
	v_fmac_f16_e32 v6, v47, v4
	v_mul_f16_sdwa v4, v46, v15 dst_sel:DWORD dst_unused:UNUSED_PAD src0_sel:WORD_1 src1_sel:DWORD
	v_fma_f16 v15, v46, v15, -v16
	s_waitcnt vmcnt(14)
	v_mul_f16_sdwa v16, v44, v8 dst_sel:DWORD dst_unused:UNUSED_PAD src0_sel:WORD_1 src1_sel:DWORD
	v_pack_b32_f16 v3, v6, v3
	v_fmac_f16_e32 v4, v46, v7
	v_mul_f16_sdwa v6, v44, v5 dst_sel:DWORD dst_unused:UNUSED_PAD src0_sel:WORD_1 src1_sel:DWORD
	s_waitcnt vmcnt(11)
	v_lshrrev_b32_e32 v7, 16, v9
	s_waitcnt vmcnt(10)
	v_mul_f16_sdwa v18, v43, v9 dst_sel:DWORD dst_unused:UNUSED_PAD src0_sel:WORD_1 src1_sel:DWORD
	v_fma_f16 v5, v44, v5, -v16
	v_pack_b32_f16 v4, v4, v15
	v_fmac_f16_e32 v6, v44, v8
	v_mul_f16_sdwa v8, v43, v7 dst_sel:DWORD dst_unused:UNUSED_PAD src0_sel:WORD_1 src1_sel:DWORD
	s_waitcnt vmcnt(8)
	v_lshrrev_b32_e32 v15, 16, v10
	v_fma_f16 v7, v43, v7, -v18
	v_mul_f16_sdwa v16, v42, v10 dst_sel:DWORD dst_unused:UNUSED_PAD src0_sel:WORD_1 src1_sel:DWORD
	ds_write_b32 v48, v4 offset:2200
	v_pack_b32_f16 v4, v6, v5
	v_fmac_f16_e32 v8, v43, v9
	v_mul_f16_sdwa v5, v42, v15 dst_sel:DWORD dst_unused:UNUSED_PAD src0_sel:WORD_1 src1_sel:DWORD
	v_fma_f16 v6, v42, v15, -v16
	s_waitcnt vmcnt(7)
	v_lshrrev_b32_e32 v9, 16, v11
	v_mul_f16_sdwa v15, v41, v11 dst_sel:DWORD dst_unused:UNUSED_PAD src0_sel:WORD_1 src1_sel:DWORD
	v_pack_b32_f16 v7, v8, v7
	v_fmac_f16_e32 v5, v42, v10
	s_waitcnt vmcnt(6)
	v_lshrrev_b32_e32 v8, 16, v12
	v_mul_f16_sdwa v10, v41, v9 dst_sel:DWORD dst_unused:UNUSED_PAD src0_sel:WORD_1 src1_sel:DWORD
	v_fma_f16 v9, v41, v9, -v15
	v_mul_f16_sdwa v15, v40, v12 dst_sel:DWORD dst_unused:UNUSED_PAD src0_sel:WORD_1 src1_sel:DWORD
	v_pack_b32_f16 v5, v5, v6
	v_mul_f16_sdwa v6, v40, v8 dst_sel:DWORD dst_unused:UNUSED_PAD src0_sel:WORD_1 src1_sel:DWORD
	v_fmac_f16_e32 v10, v41, v11
	s_waitcnt vmcnt(5)
	v_lshrrev_b32_e32 v11, 16, v13
	v_fma_f16 v8, v40, v8, -v15
	s_waitcnt vmcnt(4)
	v_mul_f16_sdwa v15, v39, v13 dst_sel:DWORD dst_unused:UNUSED_PAD src0_sel:WORD_1 src1_sel:DWORD
	v_fmac_f16_e32 v6, v40, v12
	s_waitcnt vmcnt(3)
	v_lshrrev_b32_e32 v12, 16, v14
	s_waitcnt vmcnt(2)
	v_lshrrev_b32_e32 v18, 16, v2
	v_mul_f16_sdwa v16, v39, v11 dst_sel:DWORD dst_unused:UNUSED_PAD src0_sel:WORD_1 src1_sel:DWORD
	v_fma_f16 v11, v39, v11, -v15
	s_waitcnt vmcnt(1)
	v_mul_f16_sdwa v15, v38, v14 dst_sel:DWORD dst_unused:UNUSED_PAD src0_sel:WORD_1 src1_sel:DWORD
	v_mul_f16_sdwa v21, v38, v12 dst_sel:DWORD dst_unused:UNUSED_PAD src0_sel:WORD_1 src1_sel:DWORD
	s_waitcnt vmcnt(0)
	v_mul_f16_sdwa v22, v37, v2 dst_sel:DWORD dst_unused:UNUSED_PAD src0_sel:WORD_1 src1_sel:DWORD
	v_mul_f16_sdwa v23, v37, v18 dst_sel:DWORD dst_unused:UNUSED_PAD src0_sel:WORD_1 src1_sel:DWORD
	v_fmac_f16_e32 v16, v39, v13
	v_fma_f16 v12, v38, v12, -v15
	v_fmac_f16_e32 v21, v38, v14
	v_fma_f16 v13, v37, v18, -v22
	v_fmac_f16_e32 v23, v37, v2
	v_pack_b32_f16 v2, v10, v9
	v_pack_b32_f16 v6, v6, v8
	;; [unrolled: 1-line block ×5, first 2 shown]
	ds_write2_b32 v48, v3, v4 offset1:110
	ds_write2_b32 v19, v7, v2 offset0:20 offset1:130
	ds_write2_b32 v1, v5, v6 offset0:92 offset1:202
	ds_write_b32 v48, v9 offset:1760
	ds_write2_b32 v0, v8, v10 offset0:112 offset1:222
	s_waitcnt lgkmcnt(0)
	s_barrier
	buffer_gl0_inv
	ds_read2_b32 v[2:3], v48 offset1:110
	ds_read2_b32 v[4:5], v20 offset0:56 offset1:166
	ds_read2_b32 v[6:7], v19 offset0:20 offset1:130
	;; [unrolled: 1-line block ×4, first 2 shown]
	v_lshlrev_b32_e32 v22, 1, v45
	v_add_co_u32 v18, s6, 0x6e, v45
	v_add_co_ci_u32_e64 v12, null, 0, 0, s6
	v_and_b32_e32 v23, 1, v45
	v_lshlrev_b32_e32 v21, 2, v22
	v_lshlrev_b32_e32 v28, 3, v18
	s_waitcnt lgkmcnt(0)
	s_barrier
	v_lshlrev_b32_e32 v25, 2, v23
	v_add_nc_u32_e32 v26, 0x400, v21
	buffer_gl0_inv
	v_add_nc_u32_e32 v31, 0x294, v22
	v_add_nc_u32_e32 v30, 0x1b8, v22
	;; [unrolled: 1-line block ×3, first 2 shown]
	v_pk_add_f16 v12, v2, v5 neg_lo:[0,1] neg_hi:[0,1]
	v_pk_add_f16 v6, v3, v6 neg_lo:[0,1] neg_hi:[0,1]
	;; [unrolled: 1-line block ×5, first 2 shown]
	v_pk_fma_f16 v11, v2, 2.0, v12 op_sel_hi:[1,0,1] neg_lo:[0,0,1] neg_hi:[0,0,1]
	v_pk_fma_f16 v5, v3, 2.0, v6 op_sel_hi:[1,0,1] neg_lo:[0,0,1] neg_hi:[0,0,1]
	v_pk_fma_f16 v13, v8, 2.0, v14 op_sel_hi:[1,0,1] neg_lo:[0,0,1] neg_hi:[0,0,1]
	v_pk_fma_f16 v9, v9, 2.0, v10 op_sel_hi:[1,0,1] neg_lo:[0,0,1] neg_hi:[0,0,1]
	v_pk_fma_f16 v15, v4, 2.0, v16 op_sel_hi:[1,0,1] neg_lo:[0,0,1] neg_hi:[0,0,1]
	ds_write_b64 v29, v[11:12]
	ds_write_b64 v28, v[5:6]
	ds_write2_b64 v26, v[13:14], v[9:10] offset0:92 offset1:202
	ds_write_b64 v21, v[15:16] offset:3520
	s_waitcnt lgkmcnt(0)
	s_barrier
	buffer_gl0_inv
	global_load_dword v27, v25, s[2:3]
	ds_read2_b32 v[2:3], v48 offset1:110
	ds_read2_b32 v[4:5], v20 offset0:56 offset1:166
	ds_read2_b32 v[6:7], v19 offset0:20 offset1:130
	;; [unrolled: 1-line block ×4, first 2 shown]
	v_and_or_b32 v11, 0xfc, v22, v23
	v_and_or_b32 v13, 0x3fc, v31, v23
	v_lshlrev_b32_e32 v10, 1, v18
	v_and_or_b32 v12, 0x3fc, v30, v23
	v_and_or_b32 v14, 0x7fc, v50, v23
	v_lshlrev_b32_e32 v51, 2, v11
	v_lshlrev_b32_e32 v54, 2, v13
	v_and_or_b32 v10, 0x1fc, v10, v23
	v_lshlrev_b32_e32 v53, 2, v12
	v_lshlrev_b32_e32 v55, 2, v14
	s_waitcnt vmcnt(0) lgkmcnt(0)
	s_barrier
	v_lshlrev_b32_e32 v52, 2, v10
	buffer_gl0_inv
	v_lshrrev_b32_e32 v10, 16, v2
	v_lshrrev_b32_e32 v11, 16, v5
	;; [unrolled: 1-line block ×10, first 2 shown]
	v_mul_f16_sdwa v19, v11, v27 dst_sel:DWORD dst_unused:UNUSED_PAD src0_sel:DWORD src1_sel:WORD_1
	v_mul_f16_sdwa v25, v5, v27 dst_sel:DWORD dst_unused:UNUSED_PAD src0_sel:DWORD src1_sel:WORD_1
	;; [unrolled: 1-line block ×10, first 2 shown]
	v_fma_f16 v5, v5, v27, -v19
	v_fmac_f16_e32 v25, v11, v27
	v_fma_f16 v6, v6, v27, -v26
	v_fmac_f16_e32 v32, v13, v27
	;; [unrolled: 2-line block ×5, first 2 shown]
	v_sub_f16_e32 v9, v2, v5
	v_sub_f16_e32 v59, v10, v25
	;; [unrolled: 1-line block ×10, first 2 shown]
	v_fma_f16 v8, v2, 2.0, -v9
	v_fma_f16 v19, v10, 2.0, -v59
	;; [unrolled: 1-line block ×10, first 2 shown]
	v_pack_b32_f16 v2, v9, v59
	v_pack_b32_f16 v7, v8, v19
	;; [unrolled: 1-line block ×10, first 2 shown]
	ds_write2_b32 v51, v7, v2 offset1:2
	ds_write2_b32 v52, v20, v3 offset1:2
	;; [unrolled: 1-line block ×5, first 2 shown]
	s_waitcnt lgkmcnt(0)
	s_barrier
	buffer_gl0_inv
	s_and_saveexec_b32 s6, vcc_lo
	s_cbranch_execz .LBB0_3
; %bb.2:
	v_add_nc_u32_e32 v2, 0x400, v48
	ds_read2_b32 v[10:11], v1 offset0:72 offset1:172
	v_add_nc_u32_e32 v1, 0x800, v48
	ds_read2_b32 v[8:9], v48 offset1:100
	ds_read2_b32 v[12:13], v0 offset0:32 offset1:132
	ds_read2_b32 v[16:17], v2 offset0:144 offset1:244
	ds_read2_b32 v[14:15], v1 offset0:88 offset1:188
	ds_read_b32 v69, v48 offset:4000
	s_waitcnt lgkmcnt(5)
	v_lshrrev_b32_e32 v60, 16, v10
	v_lshrrev_b32_e32 v58, 16, v11
	s_waitcnt lgkmcnt(4)
	v_lshrrev_b32_e32 v19, 16, v8
	v_lshrrev_b32_e32 v59, 16, v9
	s_waitcnt lgkmcnt(3)
	v_lshrrev_b32_e32 v66, 16, v12
	v_lshrrev_b32_e32 v32, 16, v13
	s_waitcnt lgkmcnt(2)
	v_lshrrev_b32_e32 v68, 16, v16
	v_lshrrev_b32_e32 v65, 16, v17
	s_waitcnt lgkmcnt(1)
	v_lshrrev_b32_e32 v67, 16, v14
	v_lshrrev_b32_e32 v64, 16, v15
	s_waitcnt lgkmcnt(0)
	v_lshrrev_b32_e32 v70, 16, v69
.LBB0_3:
	s_or_b32 exec_lo, exec_lo, s6
	v_and_b32_e32 v49, 3, v45
	v_lshlrev_b32_e32 v31, 2, v31
	v_mad_u64_u32 v[20:21], null, v49, 40, s[2:3]
	s_clause 0x2
	global_load_dwordx4 v[4:7], v[20:21], off offset:8
	global_load_dwordx4 v[0:3], v[20:21], off offset:24
	global_load_dwordx2 v[25:26], v[20:21], off offset:40
	s_waitcnt vmcnt(0)
	s_barrier
	buffer_gl0_inv
	v_mul_f16_sdwa v61, v59, v4 dst_sel:DWORD dst_unused:UNUSED_PAD src0_sel:DWORD src1_sel:WORD_1
	v_mul_f16_sdwa v57, v9, v4 dst_sel:DWORD dst_unused:UNUSED_PAD src0_sel:DWORD src1_sel:WORD_1
	;; [unrolled: 1-line block ×9, first 2 shown]
	v_fma_f16 v63, v9, v4, -v61
	v_fmac_f16_e32 v57, v59, v4
	v_fma_f16 v9, v69, v26, -v78
	v_fmac_f16_e32 v21, v70, v26
	v_mul_f16_sdwa v36, v11, v6 dst_sel:DWORD dst_unused:UNUSED_PAD src0_sel:DWORD src1_sel:WORD_1
	v_mul_f16_sdwa v72, v68, v7 dst_sel:DWORD dst_unused:UNUSED_PAD src0_sel:DWORD src1_sel:WORD_1
	;; [unrolled: 1-line block ×6, first 2 shown]
	v_fma_f16 v62, v10, v5, -v62
	v_fmac_f16_e32 v56, v60, v5
	v_fma_f16 v61, v11, v6, -v71
	v_fma_f16 v11, v13, v25, -v77
	v_fmac_f16_e32 v20, v32, v25
	v_sub_f16_e32 v78, v63, v9
	v_sub_f16_e32 v86, v57, v21
	v_mul_f16_sdwa v35, v16, v7 dst_sel:DWORD dst_unused:UNUSED_PAD src0_sel:DWORD src1_sel:WORD_1
	v_mul_f16_sdwa v73, v65, v0 dst_sel:DWORD dst_unused:UNUSED_PAD src0_sel:DWORD src1_sel:WORD_1
	;; [unrolled: 1-line block ×4, first 2 shown]
	v_fmac_f16_e32 v36, v58, v6
	v_fma_f16 v60, v16, v7, -v72
	v_fma_f16 v16, v14, v1, -v74
	v_fmac_f16_e32 v33, v67, v1
	v_fma_f16 v10, v12, v3, -v76
	v_fmac_f16_e32 v22, v66, v3
	v_add_f16_e32 v67, v63, v9
	v_add_f16_e32 v82, v57, v21
	v_sub_f16_e32 v79, v62, v11
	v_sub_f16_e32 v87, v56, v20
	v_mul_f16_e32 v74, 0xb853, v86
	v_mul_f16_e32 v76, 0xb853, v78
	v_mul_f16_sdwa v34, v17, v0 dst_sel:DWORD dst_unused:UNUSED_PAD src0_sel:DWORD src1_sel:WORD_1
	v_fmac_f16_e32 v35, v68, v7
	v_fma_f16 v17, v17, v0, -v73
	v_fma_f16 v14, v15, v2, -v75
	v_fmac_f16_e32 v23, v64, v2
	v_add_f16_e32 v72, v62, v11
	v_add_f16_e32 v83, v56, v20
	v_sub_f16_e32 v77, v61, v10
	v_sub_f16_e32 v89, v36, v22
	v_mul_f16_e32 v69, 0xbb47, v87
	v_mul_f16_e32 v73, 0xbb47, v79
	v_fmamk_f16 v15, v67, 0x3abb, v74
	v_fma_f16 v32, v82, 0x3abb, -v76
	v_fmac_f16_e32 v34, v65, v0
	v_add_f16_e32 v13, v61, v10
	v_add_f16_e32 v81, v36, v22
	v_sub_f16_e32 v90, v35, v23
	v_sub_f16_e32 v80, v60, v14
	v_mul_f16_e32 v66, 0xbbeb, v89
	v_mul_f16_e32 v70, 0xbbeb, v77
	v_fmamk_f16 v58, v72, 0x36a6, v69
	v_fma_f16 v59, v83, 0x36a6, -v73
	v_add_f16_e32 v71, v8, v15
	v_add_f16_e32 v32, v19, v32
	;; [unrolled: 1-line block ×4, first 2 shown]
	v_sub_f16_e32 v88, v34, v33
	v_sub_f16_e32 v75, v17, v16
	v_mul_f16_e32 v65, 0xba0c, v90
	v_mul_f16_e32 v68, 0xba0c, v80
	v_fmamk_f16 v91, v13, 0xb08e, v66
	v_fma_f16 v92, v81, 0xb08e, -v70
	v_add_f16_e32 v58, v58, v71
	v_add_f16_e32 v32, v59, v32
	;; [unrolled: 1-line block ×4, first 2 shown]
	v_mul_f16_e32 v15, 0xb482, v88
	v_mul_f16_e32 v71, 0xb482, v75
	v_fmamk_f16 v59, v64, 0xb93d, v65
	v_fma_f16 v93, v84, 0xb93d, -v68
	v_add_f16_e32 v58, v91, v58
	v_add_f16_e32 v32, v92, v32
	v_fmamk_f16 v91, v12, 0xbbad, v15
	v_fma_f16 v92, v85, 0xbbad, -v71
	v_add_f16_e32 v58, v59, v58
	v_add_f16_e32 v59, v93, v32
	v_lshlrev_b32_e32 v32, 2, v30
	v_lshlrev_b32_e32 v30, 2, v50
	v_lshrrev_b32_e32 v50, 2, v45
	v_add_f16_e32 v58, v91, v58
	v_add_f16_e32 v59, v92, v59
	s_and_saveexec_b32 s6, vcc_lo
	s_cbranch_execz .LBB0_5
; %bb.4:
	v_mul_f16_e32 v91, 0x36a6, v82
	v_mul_f16_e32 v92, 0xb93d, v83
	;; [unrolled: 1-line block ×5, first 2 shown]
	v_fmamk_f16 v96, v78, 0x3b47, v91
	v_fmamk_f16 v100, v79, 0x3a0c, v92
	v_mul_f16_e32 v98, 0xba0c, v87
	v_mul_f16_e32 v102, 0xb08e, v82
	v_fmamk_f16 v104, v77, 0xb482, v93
	v_add_f16_e32 v96, v19, v96
	v_fmamk_f16 v106, v67, 0x36a6, v97
	v_mul_f16_e32 v95, 0x3abb, v85
	v_mul_f16_e32 v99, 0x3482, v89
	v_mul_f16_e32 v103, 0xbbad, v83
	v_add_f16_e32 v96, v100, v96
	v_fmamk_f16 v100, v80, 0xbbeb, v94
	v_fmamk_f16 v107, v78, 0x3beb, v102
	v_add_f16_e32 v106, v8, v106
	v_mul_f16_e32 v101, 0x3beb, v90
	v_add_f16_e32 v96, v104, v96
	v_fmamk_f16 v104, v72, 0xb93d, v98
	v_fmamk_f16 v105, v75, 0xb853, v95
	;; [unrolled: 1-line block ×3, first 2 shown]
	v_add_f16_e32 v107, v19, v107
	v_add_f16_e32 v96, v100, v96
	v_mul_f16_e32 v100, 0x36a6, v81
	v_fmamk_f16 v109, v13, 0xbbad, v99
	v_add_f16_e32 v104, v104, v106
	v_add_f16_e32 v106, v108, v107
	;; [unrolled: 1-line block ×3, first 2 shown]
	v_fmamk_f16 v105, v77, 0xbb47, v100
	v_mul_f16_e32 v107, 0x3abb, v84
	v_add_f16_e32 v104, v109, v104
	v_fmamk_f16 v108, v64, 0xb08e, v101
	v_mul_f16_e32 v109, 0x3853, v88
	v_add_f16_e32 v105, v105, v106
	;; [unrolled: 3-line block ×13, first 2 shown]
	v_fmamk_f16 v121, v12, 0xb93d, v122
	v_mul_f16_e32 v128, 0xbbad, v82
	v_mul_f16_e32 v115, 0xba0c, v86
	v_add_f16_e32 v106, v117, v106
	v_fmamk_f16 v117, v75, 0xbb47, v125
	v_add_f16_e32 v108, v121, v108
	v_fmamk_f16 v121, v78, 0x3482, v128
	v_mul_f16_e32 v130, 0x3abb, v83
	v_mul_f16_e32 v86, 0xb482, v86
	;; [unrolled: 1-line block ×3, first 2 shown]
	v_add_f16_e32 v106, v117, v106
	v_add_f16_e32 v117, v19, v121
	v_fmamk_f16 v121, v79, 0xb853, v130
	v_mul_f16_e32 v131, 0xb93d, v81
	v_fmamk_f16 v134, v67, 0xbbad, v86
	v_mul_f16_e32 v87, 0x3853, v87
	v_fma_f16 v86, v67, 0xbbad, -v86
	v_mul_f16_e32 v127, 0xb853, v89
	v_add_f16_e32 v117, v121, v117
	v_fmamk_f16 v121, v77, 0x3a0c, v131
	v_mul_f16_e32 v132, 0x36a6, v84
	v_fmamk_f16 v136, v72, 0x3abb, v87
	v_mul_f16_e32 v89, 0xba0c, v89
	v_add_f16_e32 v86, v8, v86
	v_fma_f16 v87, v72, 0x3abb, -v87
	v_mul_f16_e32 v129, 0xb482, v90
	v_add_f16_e32 v117, v121, v117
	v_fmamk_f16 v121, v80, 0xbb47, v132
	v_mul_f16_e32 v135, 0xb08e, v85
	v_fmac_f16_e32 v128, 0xb482, v78
	v_mul_f16_e32 v90, 0x3b47, v90
	v_fmac_f16_e32 v112, 0xba0c, v78
	v_add_f16_e32 v86, v87, v86
	v_fma_f16 v87, v13, 0xb93d, -v89
	v_fmac_f16_e32 v102, 0xbbeb, v78
	v_add_f16_e32 v117, v121, v117
	v_fmamk_f16 v121, v75, 0x3beb, v135
	v_add_f16_e32 v128, v19, v128
	v_fmac_f16_e32 v130, 0x3853, v79
	v_add_f16_e32 v112, v19, v112
	v_fmac_f16_e32 v114, 0x3beb, v79
	v_add_f16_e32 v86, v87, v86
	v_fma_f16 v87, v64, 0x36a6, -v90
	v_add_f16_e32 v102, v19, v102
	v_fmac_f16_e32 v103, 0x3482, v79
	v_fmamk_f16 v123, v67, 0xb93d, v115
	v_add_f16_e32 v117, v121, v117
	v_add_f16_e32 v121, v130, v128
	v_fmac_f16_e32 v131, 0xba0c, v77
	v_add_f16_e32 v112, v114, v112
	v_fmac_f16_e32 v118, 0xb853, v77
	v_add_f16_e32 v86, v87, v86
	v_mul_f16_e32 v87, 0x3abb, v67
	v_fma_f16 v114, v67, 0xb93d, -v115
	v_add_f16_e32 v102, v103, v102
	v_fmac_f16_e32 v100, 0x3b47, v77
	v_fma_f16 v111, v67, 0xb08e, -v111
	v_fma_f16 v67, v67, 0x36a6, -v97
	v_add_f16_e32 v123, v8, v123
	v_fmamk_f16 v126, v72, 0xb08e, v124
	v_add_f16_e32 v134, v8, v134
	v_add_f16_e32 v121, v131, v121
	v_fmac_f16_e32 v132, 0x3b47, v80
	v_add_f16_e32 v112, v118, v112
	v_fmac_f16_e32 v120, 0xb482, v80
	v_mul_f16_e32 v115, 0x36a6, v72
	v_fma_f16 v118, v72, 0xb08e, -v124
	v_add_f16_e32 v100, v100, v102
	v_fmac_f16_e32 v107, 0xb853, v80
	v_add_f16_e32 v102, v8, v111
	v_fma_f16 v111, v72, 0xbbad, -v113
	v_add_f16_e32 v67, v8, v67
	v_fma_f16 v72, v72, 0xb93d, -v98
	v_add_f16_e32 v63, v8, v63
	v_add_f16_e32 v57, v19, v57
	;; [unrolled: 1-line block ×3, first 2 shown]
	v_fmamk_f16 v126, v13, 0x3abb, v127
	v_add_f16_e32 v134, v136, v134
	v_fmamk_f16 v136, v13, 0xb93d, v89
	v_add_f16_e32 v89, v132, v121
	v_add_f16_e32 v112, v120, v112
	v_mul_f16_e32 v120, 0xb08e, v13
	v_fma_f16 v121, v13, 0x3abb, -v127
	v_add_f16_e32 v100, v107, v100
	v_fma_f16 v107, v13, 0x36a6, -v116
	v_add_f16_e32 v67, v72, v67
	;; [unrolled: 2-line block ×3, first 2 shown]
	v_add_f16_e32 v56, v57, v56
	v_mul_f16_e32 v82, 0x3abb, v82
	v_fma_f16 v57, v64, 0xb08e, -v101
	v_add_f16_e32 v13, v13, v67
	v_add_f16_e32 v61, v62, v61
	;; [unrolled: 1-line block ×3, first 2 shown]
	v_mul_f16_e32 v83, 0x36a6, v83
	v_fmac_f16_e32 v91, 0xbb47, v78
	v_add_f16_e32 v62, v76, v82
	v_add_f16_e32 v13, v57, v13
	;; [unrolled: 1-line block ×4, first 2 shown]
	v_mul_f16_e32 v81, 0xb08e, v81
	v_add_f16_e32 v91, v19, v91
	v_sub_f16_e32 v56, v87, v74
	v_add_f16_e32 v19, v19, v62
	v_add_f16_e32 v36, v73, v83
	;; [unrolled: 1-line block ×5, first 2 shown]
	v_mul_f16_e32 v84, 0xb93d, v84
	v_add_f16_e32 v8, v8, v56
	v_sub_f16_e32 v56, v115, v69
	v_add_f16_e32 v19, v36, v19
	v_add_f16_e32 v35, v70, v81
	;; [unrolled: 1-line block ×5, first 2 shown]
	v_fmamk_f16 v126, v64, 0xbbad, v129
	v_add_f16_e32 v114, v118, v114
	v_mul_f16_e32 v118, 0xb93d, v64
	v_fmac_f16_e32 v92, 0xba0c, v79
	v_add_f16_e32 v8, v56, v8
	v_sub_f16_e32 v33, v120, v66
	v_add_f16_e32 v19, v35, v19
	v_add_f16_e32 v14, v16, v14
	;; [unrolled: 1-line block ×5, first 2 shown]
	v_mul_f16_e32 v126, 0x3b47, v88
	v_mul_f16_e32 v103, 0xbbad, v12
	;; [unrolled: 1-line block ×3, first 2 shown]
	v_add_f16_e32 v102, v111, v102
	v_add_f16_e32 v91, v92, v91
	v_fmac_f16_e32 v93, 0x3482, v77
	v_add_f16_e32 v8, v33, v8
	v_sub_f16_e32 v23, v118, v65
	v_add_f16_e32 v10, v14, v10
	v_add_f16_e32 v14, v16, v19
	v_add_f16_e32 v16, v17, v22
	v_fmamk_f16 v133, v12, 0x36a6, v126
	v_mul_f16_e32 v88, 0xbbeb, v88
	v_add_f16_e32 v79, v107, v102
	v_fma_f16 v97, v64, 0x3abb, -v119
	v_add_f16_e32 v91, v93, v91
	v_fmac_f16_e32 v94, 0x3beb, v80
	v_add_f16_e32 v17, v71, v85
	v_add_f16_e32 v8, v23, v8
	;; [unrolled: 1-line block ×3, first 2 shown]
	v_mul_u32_u24_e32 v11, 44, v50
	v_add_f16_e32 v16, v16, v20
	v_sub_f16_e32 v15, v103, v15
	v_add_f16_e32 v114, v121, v114
	v_fma_f16 v121, v64, 0xbbad, -v129
	v_add_f16_e32 v123, v133, v123
	v_add_f16_e32 v133, v136, v134
	v_fmamk_f16 v134, v64, 0x36a6, v90
	v_fmamk_f16 v130, v12, 0xb08e, v88
	v_fma_f16 v88, v12, 0xb08e, -v88
	v_fma_f16 v78, v12, 0x36a6, -v126
	v_fmac_f16_e32 v110, 0xba0c, v75
	v_add_f16_e32 v79, v97, v79
	v_fma_f16 v72, v12, 0xb93d, -v122
	v_add_f16_e32 v80, v94, v91
	v_fmac_f16_e32 v95, 0x3853, v75
	v_add_f16_e32 v14, v17, v14
	v_add_f16_e32 v9, v10, v9
	v_or_b32_e32 v10, v11, v49
	v_add_f16_e32 v11, v16, v21
	v_add_f16_e32 v8, v15, v8
	v_fma_f16 v12, v12, 0x3abb, -v109
	v_fmac_f16_e32 v135, 0xbbeb, v75
	v_fmac_f16_e32 v125, 0x3b47, v75
	v_add_f16_e32 v113, v121, v114
	v_add_f16_e32 v128, v134, v133
	;; [unrolled: 1-line block ×4, first 2 shown]
	v_lshlrev_b32_e32 v10, 2, v10
	v_pack_b32_f16 v9, v9, v11
	v_pack_b32_f16 v8, v8, v14
	v_add_f16_e32 v11, v12, v13
	v_add_f16_e32 v12, v72, v79
	;; [unrolled: 1-line block ×7, first 2 shown]
	ds_write2_b32 v10, v9, v8 offset1:4
	v_pack_b32_f16 v8, v11, v15
	v_pack_b32_f16 v9, v12, v77
	;; [unrolled: 1-line block ×8, first 2 shown]
	v_perm_b32 v17, v59, v58, 0x5040100
	ds_write2_b32 v10, v8, v9 offset0:8 offset1:12
	ds_write2_b32 v10, v11, v12 offset0:16 offset1:20
	;; [unrolled: 1-line block ×4, first 2 shown]
	ds_write_b32 v10, v17 offset:160
.LBB0_5:
	s_or_b32 exec_lo, exec_lo, s6
	v_and_b32_e32 v8, 0xff, v45
	v_and_b32_e32 v9, 0xff, v18
	s_waitcnt lgkmcnt(0)
	s_barrier
	buffer_gl0_inv
	v_mul_lo_u16 v8, 0xbb, v8
	v_add_nc_u32_e32 v61, 0x200, v48
	v_add_nc_u32_e32 v34, 0x600, v48
	;; [unrolled: 1-line block ×4, first 2 shown]
	v_lshrrev_b16 v23, 13, v8
	v_mul_lo_u16 v8, 0xbb, v9
	ds_read2_b32 v[16:17], v48 offset1:110
	v_mov_b32_e32 v65, 0xdc
	v_lshlrev_b32_e32 v66, 4, v45
	v_mul_lo_u16 v9, v23, 44
	v_lshrrev_b16 v56, 13, v8
	v_mul_u32_u24_sdwa v23, v23, v65 dst_sel:DWORD dst_unused:UNUSED_PAD src0_sel:WORD_0 src1_sel:DWORD
	v_sub_nc_u16 v8, v45, v9
	v_mul_lo_u16 v9, v56, 44
	v_mul_u32_u24_sdwa v56, v56, v65 dst_sel:DWORD dst_unused:UNUSED_PAD src0_sel:WORD_0 src1_sel:DWORD
	v_and_b32_e32 v57, 0xff, v8
	v_sub_nc_u16 v8, v18, v9
	v_lshlrev_b32_e32 v9, 4, v57
	v_and_b32_e32 v64, 0xff, v8
	v_add_lshl_u32 v57, v23, v57, 2
	s_waitcnt lgkmcnt(0)
	v_lshrrev_b32_e32 v65, 16, v16
	v_lshrrev_b32_e32 v67, 16, v17
	global_load_dwordx4 v[12:15], v9, s[2:3] offset:168
	v_lshlrev_b32_e32 v8, 4, v64
	v_add_lshl_u32 v56, v56, v64, 2
	global_load_dwordx4 v[8:11], v8, s[2:3] offset:168
	ds_read2_b32 v[19:20], v61 offset0:92 offset1:202
	ds_read2_b32 v[21:22], v34 offset0:56 offset1:166
	;; [unrolled: 1-line block ×4, first 2 shown]
	s_waitcnt vmcnt(0) lgkmcnt(0)
	s_barrier
	buffer_gl0_inv
	v_lshrrev_b32_e32 v68, 16, v19
	v_lshrrev_b32_e32 v69, 16, v21
	;; [unrolled: 1-line block ×8, first 2 shown]
	v_mul_f16_sdwa v23, v68, v12 dst_sel:DWORD dst_unused:UNUSED_PAD src0_sel:DWORD src1_sel:WORD_1
	v_mul_f16_sdwa v64, v19, v12 dst_sel:DWORD dst_unused:UNUSED_PAD src0_sel:DWORD src1_sel:WORD_1
	;; [unrolled: 1-line block ×16, first 2 shown]
	v_fma_f16 v19, v19, v12, -v23
	v_fmac_f16_e32 v64, v68, v12
	v_fma_f16 v21, v21, v13, -v76
	v_fmac_f16_e32 v77, v69, v13
	;; [unrolled: 2-line block ×8, first 2 shown]
	v_add_f16_e32 v63, v16, v19
	v_add_f16_e32 v68, v21, v23
	v_sub_f16_e32 v71, v19, v21
	v_sub_f16_e32 v72, v35, v23
	v_add_f16_e32 v73, v19, v35
	v_add_f16_e32 v76, v65, v64
	;; [unrolled: 1-line block ×4, first 2 shown]
	v_sub_f16_e32 v74, v21, v19
	v_sub_f16_e32 v75, v23, v35
	;; [unrolled: 1-line block ×4, first 2 shown]
	v_add_f16_e32 v90, v17, v20
	v_add_f16_e32 v91, v22, v36
	;; [unrolled: 1-line block ×6, first 2 shown]
	v_sub_f16_e32 v69, v64, v81
	v_sub_f16_e32 v19, v19, v35
	;; [unrolled: 1-line block ×3, first 2 shown]
	v_add_f16_e32 v21, v63, v21
	v_fma_f16 v63, -0.5, v68, v16
	v_add_f16_e32 v68, v71, v72
	v_fma_f16 v16, -0.5, v73, v16
	;; [unrolled: 2-line block ×3, first 2 shown]
	v_sub_f16_e32 v70, v77, v79
	v_fmac_f16_e32 v65, -0.5, v86
	v_sub_f16_e32 v92, v83, v89
	v_sub_f16_e32 v94, v20, v22
	;; [unrolled: 1-line block ×5, first 2 shown]
	v_add_f16_e32 v71, v74, v75
	v_add_f16_e32 v74, v82, v84
	;; [unrolled: 1-line block ×3, first 2 shown]
	v_fma_f16 v75, -0.5, v91, v17
	v_add_f16_e32 v78, v99, v85
	v_fma_f16 v82, -0.5, v100, v67
	v_sub_f16_e32 v64, v77, v64
	v_sub_f16_e32 v88, v79, v81
	;; [unrolled: 1-line block ×3, first 2 shown]
	v_fmac_f16_e32 v17, -0.5, v96
	v_fmac_f16_e32 v67, -0.5, v104
	v_add_f16_e32 v21, v21, v23
	v_fmamk_f16 v23, v69, 0x3b9c, v63
	v_add_f16_e32 v72, v72, v79
	v_fmamk_f16 v79, v19, 0xbb9c, v73
	v_sub_f16_e32 v102, v83, v85
	v_sub_f16_e32 v83, v85, v83
	v_fmamk_f16 v85, v70, 0xbb9c, v16
	v_fmac_f16_e32 v16, 0x3b9c, v70
	v_fmamk_f16 v86, v80, 0x3b9c, v65
	v_fmac_f16_e32 v65, 0xbb9c, v80
	v_fmac_f16_e32 v63, 0xbb9c, v69
	;; [unrolled: 1-line block ×3, first 2 shown]
	v_sub_f16_e32 v95, v62, v36
	v_sub_f16_e32 v98, v36, v62
	;; [unrolled: 1-line block ×4, first 2 shown]
	v_add_f16_e32 v22, v22, v36
	v_fmamk_f16 v36, v92, 0x3b9c, v75
	v_add_f16_e32 v78, v78, v87
	v_fmamk_f16 v87, v20, 0xbb9c, v82
	;; [unrolled: 2-line block ×3, first 2 shown]
	v_fmac_f16_e32 v17, 0x3b9c, v93
	v_fmamk_f16 v90, v101, 0x3b9c, v67
	v_fmac_f16_e32 v67, 0xbb9c, v101
	v_fmac_f16_e32 v75, 0xbb9c, v92
	;; [unrolled: 1-line block ×11, first 2 shown]
	v_add_f16_e32 v76, v94, v95
	v_add_f16_e32 v84, v102, v103
	v_fmac_f16_e32 v36, 0x38b4, v93
	v_fmac_f16_e32 v87, 0xb8b4, v101
	v_add_f16_e32 v77, v97, v98
	v_add_f16_e32 v83, v83, v105
	v_fmac_f16_e32 v88, 0x38b4, v92
	v_fmac_f16_e32 v17, 0xb8b4, v92
	v_fmac_f16_e32 v90, 0xb8b4, v20
	v_fmac_f16_e32 v67, 0x38b4, v20
	v_add_f16_e32 v21, v21, v35
	v_add_f16_e32 v35, v72, v81
	v_fmac_f16_e32 v75, 0xb8b4, v93
	v_fmac_f16_e32 v82, 0x38b4, v101
	;; [unrolled: 6-line block ×3, first 2 shown]
	v_fmac_f16_e32 v86, 0x34f2, v64
	v_fmac_f16_e32 v65, 0x34f2, v64
	;; [unrolled: 1-line block ×12, first 2 shown]
	v_pack_b32_f16 v20, v21, v35
	v_pack_b32_f16 v21, v23, v79
	;; [unrolled: 1-line block ×10, first 2 shown]
	ds_write2_b32 v57, v20, v21 offset1:44
	ds_write2_b32 v57, v22, v16 offset0:88 offset1:132
	ds_write_b32 v57, v23 offset:704
	ds_write2_b32 v56, v19, v35 offset1:44
	ds_write2_b32 v56, v36, v17 offset0:88 offset1:132
	ds_write_b32 v56, v62 offset:704
	s_waitcnt lgkmcnt(0)
	s_barrier
	buffer_gl0_inv
	global_load_dwordx4 v[20:23], v66, s[2:3] offset:872
	v_lshlrev_b32_e32 v16, 4, v18
	v_lshlrev_b32_e32 v70, 2, v45
	global_load_dwordx4 v[16:19], v16, s[2:3] offset:872
	ds_read2_b32 v[35:36], v48 offset1:110
	ds_read2_b32 v[62:63], v61 offset0:92 offset1:202
	ds_read2_b32 v[64:65], v34 offset0:56 offset1:166
	;; [unrolled: 1-line block ×4, first 2 shown]
	v_add_co_u32 v72, s0, s0, v70
	v_add_co_ci_u32_e64 v73, null, s1, 0, s0
	v_add_co_u32 v70, s0, 0x1000, v72
	v_add_co_ci_u32_e64 v71, s0, 0, v73, s0
	s_waitcnt lgkmcnt(4)
	v_lshrrev_b32_e32 v74, 16, v35
	s_waitcnt lgkmcnt(3)
	v_lshrrev_b32_e32 v75, 16, v62
	;; [unrolled: 2-line block ×5, first 2 shown]
	v_lshrrev_b32_e32 v80, 16, v63
	v_lshrrev_b32_e32 v81, 16, v65
	;; [unrolled: 1-line block ×5, first 2 shown]
	s_waitcnt vmcnt(1)
	v_mul_f16_sdwa v84, v75, v20 dst_sel:DWORD dst_unused:UNUSED_PAD src0_sel:DWORD src1_sel:WORD_1
	v_mul_f16_sdwa v85, v62, v20 dst_sel:DWORD dst_unused:UNUSED_PAD src0_sel:DWORD src1_sel:WORD_1
	;; [unrolled: 1-line block ×8, first 2 shown]
	s_waitcnt vmcnt(0)
	v_mul_f16_sdwa v92, v80, v16 dst_sel:DWORD dst_unused:UNUSED_PAD src0_sel:DWORD src1_sel:WORD_1
	v_mul_f16_sdwa v93, v63, v16 dst_sel:DWORD dst_unused:UNUSED_PAD src0_sel:DWORD src1_sel:WORD_1
	;; [unrolled: 1-line block ×8, first 2 shown]
	v_fma_f16 v62, v62, v20, -v84
	v_fmac_f16_e32 v85, v75, v20
	v_fma_f16 v64, v64, v21, -v86
	v_fmac_f16_e32 v87, v76, v21
	;; [unrolled: 2-line block ×8, first 2 shown]
	v_add_f16_e32 v75, v35, v62
	v_add_f16_e32 v76, v64, v66
	v_sub_f16_e32 v80, v62, v64
	v_sub_f16_e32 v81, v68, v66
	v_add_f16_e32 v82, v62, v68
	v_add_f16_e32 v86, v74, v85
	;; [unrolled: 1-line block ×4, first 2 shown]
	v_sub_f16_e32 v77, v85, v91
	v_sub_f16_e32 v83, v64, v62
	;; [unrolled: 1-line block ×9, first 2 shown]
	v_add_f16_e32 v100, v36, v63
	v_add_f16_e32 v101, v65, v67
	;; [unrolled: 1-line block ×7, first 2 shown]
	v_fma_f16 v75, -0.5, v76, v35
	v_add_f16_e32 v76, v80, v81
	v_fma_f16 v35, -0.5, v82, v35
	v_add_f16_e32 v81, v86, v87
	v_fma_f16 v82, -0.5, v88, v74
	v_sub_f16_e32 v78, v87, v89
	v_fmac_f16_e32 v74, -0.5, v96
	v_sub_f16_e32 v102, v93, v99
	v_sub_f16_e32 v103, v95, v97
	;; [unrolled: 1-line block ×6, first 2 shown]
	v_add_f16_e32 v80, v83, v84
	v_add_f16_e32 v83, v92, v94
	;; [unrolled: 1-line block ×4, first 2 shown]
	v_fma_f16 v85, -0.5, v101, v36
	v_fmac_f16_e32 v36, -0.5, v106
	v_add_f16_e32 v88, v109, v95
	v_fma_f16 v92, -0.5, v110, v79
	v_fmac_f16_e32 v79, -0.5, v114
	v_add_f16_e32 v64, v64, v66
	v_fmamk_f16 v66, v77, 0x3b9c, v75
	v_add_f16_e32 v81, v81, v89
	v_fmamk_f16 v89, v62, 0xbb9c, v82
	v_sub_f16_e32 v112, v93, v95
	v_sub_f16_e32 v93, v95, v93
	v_fmamk_f16 v95, v78, 0xbb9c, v35
	v_fmamk_f16 v96, v90, 0x3b9c, v74
	v_fmac_f16_e32 v35, 0x3b9c, v78
	v_fmac_f16_e32 v74, 0xbb9c, v90
	;; [unrolled: 1-line block ×4, first 2 shown]
	v_sub_f16_e32 v105, v69, v67
	v_sub_f16_e32 v108, v67, v69
	;; [unrolled: 1-line block ×4, first 2 shown]
	v_add_f16_e32 v65, v65, v67
	v_fmamk_f16 v67, v102, 0x3b9c, v85
	v_fmac_f16_e32 v85, 0xbb9c, v102
	v_fmamk_f16 v98, v103, 0xbb9c, v36
	v_fmac_f16_e32 v36, 0x3b9c, v103
	v_add_f16_e32 v88, v88, v97
	v_fmamk_f16 v97, v63, 0xbb9c, v92
	v_fmac_f16_e32 v92, 0x3b9c, v63
	v_fmamk_f16 v100, v111, 0x3b9c, v79
	v_fmac_f16_e32 v79, 0xbb9c, v111
	v_fmac_f16_e32 v66, 0x38b4, v78
	v_fmac_f16_e32 v89, 0xb8b4, v90
	v_fmac_f16_e32 v95, 0x38b4, v77
	v_fmac_f16_e32 v96, 0xb8b4, v62
	v_fmac_f16_e32 v35, 0xb8b4, v77
	v_fmac_f16_e32 v74, 0x38b4, v62
	v_fmac_f16_e32 v75, 0xb8b4, v78
	v_fmac_f16_e32 v82, 0x38b4, v90
	v_add_f16_e32 v86, v104, v105
	v_add_f16_e32 v87, v107, v108
	;; [unrolled: 1-line block ×6, first 2 shown]
	v_fmac_f16_e32 v67, 0x38b4, v103
	v_fmac_f16_e32 v85, 0xb8b4, v103
	;; [unrolled: 1-line block ×10, first 2 shown]
	v_add_f16_e32 v62, v65, v69
	v_add_f16_e32 v65, v88, v99
	v_fmac_f16_e32 v95, 0x34f2, v80
	v_fmac_f16_e32 v96, 0x34f2, v84
	;; [unrolled: 1-line block ×14, first 2 shown]
	v_pack_b32_f16 v63, v64, v68
	v_pack_b32_f16 v64, v66, v89
	;; [unrolled: 1-line block ×10, first 2 shown]
	ds_write_b32 v48, v64 offset:880
	ds_write_b32 v48, v65 offset:1760
	;; [unrolled: 1-line block ×4, first 2 shown]
	ds_write2_b32 v48, v63, v62 offset1:110
	ds_write_b32 v48, v67 offset:1320
	ds_write_b32 v48, v68 offset:2200
	;; [unrolled: 1-line block ×4, first 2 shown]
	s_waitcnt lgkmcnt(0)
	s_barrier
	buffer_gl0_inv
	global_load_dword v66, v[70:71], off offset:304
	v_add_co_u32 v35, s0, 0x1130, v72
	v_add_co_ci_u32_e64 v36, s0, 0, v73, s0
	v_add_co_u32 v62, s0, 0x1800, v72
	v_add_co_ci_u32_e64 v63, s0, 0, v73, s0
	global_load_dword v74, v[35:36], off offset:440
	v_add_co_u32 v64, s0, 0x2000, v72
	s_clause 0x4
	global_load_dword v75, v[62:63], off offset:456
	global_load_dword v76, v[62:63], off offset:896
	;; [unrolled: 1-line block ×5, first 2 shown]
	v_add_co_ci_u32_e64 v65, s0, 0, v73, s0
	s_clause 0x2
	global_load_dword v62, v[62:63], off offset:1776
	global_load_dword v73, v[35:36], off offset:1760
	;; [unrolled: 1-line block ×3, first 2 shown]
	ds_read2_b32 v[35:36], v48 offset1:110
	s_waitcnt lgkmcnt(0)
	v_lshrrev_b32_e32 v63, 16, v35
	s_waitcnt vmcnt(9)
	v_mul_f16_sdwa v64, v63, v66 dst_sel:DWORD dst_unused:UNUSED_PAD src0_sel:DWORD src1_sel:WORD_1
	v_mul_f16_sdwa v65, v35, v66 dst_sel:DWORD dst_unused:UNUSED_PAD src0_sel:DWORD src1_sel:WORD_1
	v_fma_f16 v35, v35, v66, -v64
	v_fmac_f16_e32 v65, v63, v66
	v_add_nc_u32_e32 v64, 0x400, v48
	s_waitcnt vmcnt(8)
	v_mul_f16_sdwa v81, v36, v74 dst_sel:DWORD dst_unused:UNUSED_PAD src0_sel:DWORD src1_sel:WORD_1
	v_pack_b32_f16 v35, v35, v65
	ds_write_b32 v48, v35
	ds_read2_b32 v[65:66], v34 offset0:56 offset1:166
	ds_read2_b32 v[67:68], v33 offset0:20 offset1:130
	;; [unrolled: 1-line block ×4, first 2 shown]
	v_lshrrev_b32_e32 v35, 16, v36
	v_mul_f16_sdwa v63, v35, v74 dst_sel:DWORD dst_unused:UNUSED_PAD src0_sel:DWORD src1_sel:WORD_1
	v_fmac_f16_e32 v81, v35, v74
	v_fma_f16 v36, v36, v74, -v63
	v_add_nc_u32_e32 v63, 0x800, v48
	v_pack_b32_f16 v35, v36, v81
	s_waitcnt lgkmcnt(3)
	v_lshrrev_b32_e32 v36, 16, v66
	s_waitcnt vmcnt(7)
	v_mul_f16_sdwa v74, v66, v75 dst_sel:DWORD dst_unused:UNUSED_PAD src0_sel:DWORD src1_sel:WORD_1
	s_waitcnt lgkmcnt(2)
	v_lshrrev_b32_e32 v81, 16, v67
	s_waitcnt vmcnt(6)
	v_mul_f16_sdwa v82, v67, v76 dst_sel:DWORD dst_unused:UNUSED_PAD src0_sel:DWORD src1_sel:WORD_1
	;; [unrolled: 4-line block ×3, first 2 shown]
	v_lshrrev_b32_e32 v85, 16, v68
	v_mul_f16_sdwa v86, v68, v77 dst_sel:DWORD dst_unused:UNUSED_PAD src0_sel:DWORD src1_sel:WORD_1
	v_lshrrev_b32_e32 v87, 16, v70
	s_waitcnt vmcnt(3)
	v_mul_f16_sdwa v88, v70, v79 dst_sel:DWORD dst_unused:UNUSED_PAD src0_sel:DWORD src1_sel:WORD_1
	s_waitcnt lgkmcnt(0)
	v_lshrrev_b32_e32 v89, 16, v71
	s_waitcnt vmcnt(2)
	v_mul_f16_sdwa v90, v71, v62 dst_sel:DWORD dst_unused:UNUSED_PAD src0_sel:DWORD src1_sel:WORD_1
	v_lshrrev_b32_e32 v91, 16, v65
	s_waitcnt vmcnt(1)
	v_mul_f16_sdwa v92, v65, v73 dst_sel:DWORD dst_unused:UNUSED_PAD src0_sel:DWORD src1_sel:WORD_1
	v_lshrrev_b32_e32 v93, 16, v72
	v_mul_f16_sdwa v95, v36, v75 dst_sel:DWORD dst_unused:UNUSED_PAD src0_sel:DWORD src1_sel:WORD_1
	v_fmac_f16_e32 v74, v36, v75
	v_mul_f16_sdwa v36, v81, v76 dst_sel:DWORD dst_unused:UNUSED_PAD src0_sel:DWORD src1_sel:WORD_1
	v_fmac_f16_e32 v82, v81, v76
	;; [unrolled: 2-line block ×6, first 2 shown]
	v_mul_f16_sdwa v89, v91, v73 dst_sel:DWORD dst_unused:UNUSED_PAD src0_sel:DWORD src1_sel:WORD_1
	s_waitcnt vmcnt(0)
	v_mul_f16_sdwa v94, v72, v80 dst_sel:DWORD dst_unused:UNUSED_PAD src0_sel:DWORD src1_sel:WORD_1
	v_fmac_f16_e32 v92, v91, v73
	v_mul_f16_sdwa v91, v93, v80 dst_sel:DWORD dst_unused:UNUSED_PAD src0_sel:DWORD src1_sel:WORD_1
	v_fma_f16 v66, v66, v75, -v95
	v_fma_f16 v36, v67, v76, -v36
	;; [unrolled: 1-line block ×7, first 2 shown]
	v_fmac_f16_e32 v94, v93, v80
	v_fma_f16 v70, v72, v80, -v91
	v_pack_b32_f16 v66, v66, v74
	v_pack_b32_f16 v36, v36, v82
	;; [unrolled: 1-line block ×8, first 2 shown]
	ds_write2_b32 v63, v66, v36 offset0:38 offset1:148
	ds_write2_b32 v48, v35, v67 offset0:110 offset1:220
	ds_write2_b32 v60, v68, v62 offset0:2 offset1:112
	ds_write2_b32 v64, v69, v65 offset0:74 offset1:184
	ds_write_b32 v48, v70 offset:3960
	s_waitcnt lgkmcnt(0)
	s_barrier
	buffer_gl0_inv
	ds_read2_b32 v[35:36], v48 offset1:110
	ds_read2_b32 v[65:66], v34 offset0:56 offset1:166
	ds_read2_b32 v[67:68], v33 offset0:20 offset1:130
	;; [unrolled: 1-line block ×4, first 2 shown]
	s_waitcnt lgkmcnt(0)
	s_barrier
	buffer_gl0_inv
	v_pk_add_f16 v73, v35, v66 neg_lo:[0,1] neg_hi:[0,1]
	v_pk_add_f16 v67, v36, v67 neg_lo:[0,1] neg_hi:[0,1]
	;; [unrolled: 1-line block ×5, first 2 shown]
	v_pk_fma_f16 v72, v35, 2.0, v73 op_sel_hi:[1,0,1] neg_lo:[0,0,1] neg_hi:[0,0,1]
	v_pk_fma_f16 v66, v36, 2.0, v67 op_sel_hi:[1,0,1] neg_lo:[0,0,1] neg_hi:[0,0,1]
	;; [unrolled: 1-line block ×5, first 2 shown]
	ds_write_b64 v29, v[72:73]
	ds_write_b64 v28, v[66:67]
	;; [unrolled: 1-line block ×5, first 2 shown]
	s_waitcnt lgkmcnt(0)
	s_barrier
	buffer_gl0_inv
	ds_read2_b32 v[74:75], v48 offset1:110
	ds_read2_b32 v[35:36], v34 offset0:56 offset1:166
	ds_read2_b32 v[28:29], v33 offset0:20 offset1:130
	;; [unrolled: 1-line block ×4, first 2 shown]
	s_waitcnt lgkmcnt(0)
	s_barrier
	buffer_gl0_inv
	v_lshrrev_b32_e32 v32, 16, v74
	v_lshrrev_b32_e32 v33, 16, v36
	;; [unrolled: 1-line block ×5, first 2 shown]
	v_mul_f16_sdwa v69, v27, v36 dst_sel:DWORD dst_unused:UNUSED_PAD src0_sel:WORD_1 src1_sel:DWORD
	v_lshrrev_b32_e32 v67, 16, v31
	v_mul_f16_sdwa v80, v27, v33 dst_sel:DWORD dst_unused:UNUSED_PAD src0_sel:WORD_1 src1_sel:DWORD
	v_mul_f16_sdwa v71, v27, v28 dst_sel:DWORD dst_unused:UNUSED_PAD src0_sel:WORD_1 src1_sel:DWORD
	;; [unrolled: 1-line block ×6, first 2 shown]
	v_fma_f16 v33, v27, v33, -v69
	v_mul_f16_sdwa v83, v27, v65 dst_sel:DWORD dst_unused:UNUSED_PAD src0_sel:WORD_1 src1_sel:DWORD
	v_mul_f16_sdwa v79, v27, v31 dst_sel:DWORD dst_unused:UNUSED_PAD src0_sel:WORD_1 src1_sel:DWORD
	;; [unrolled: 1-line block ×3, first 2 shown]
	v_fmac_f16_e32 v80, v27, v36
	v_lshrrev_b32_e32 v66, 16, v75
	v_fma_f16 v34, v27, v34, -v71
	v_fmac_f16_e32 v81, v27, v28
	v_lshrrev_b32_e32 v68, 16, v76
	v_fma_f16 v62, v27, v62, -v72
	;; [unrolled: 3-line block ×3, first 2 shown]
	v_fmac_f16_e32 v83, v27, v30
	v_sub_f16_e32 v73, v32, v33
	v_lshrrev_b32_e32 v78, 16, v35
	v_fma_f16 v72, v27, v67, -v79
	v_fmac_f16_e32 v84, v27, v31
	v_sub_f16_e32 v28, v74, v80
	v_sub_f16_e32 v69, v66, v34
	;; [unrolled: 1-line block ×6, first 2 shown]
	v_fma_f16 v62, v32, 2.0, -v73
	v_sub_f16_e32 v32, v77, v83
	v_sub_f16_e32 v72, v78, v72
	;; [unrolled: 1-line block ×3, first 2 shown]
	v_fma_f16 v27, v74, 2.0, -v28
	v_fma_f16 v71, v66, 2.0, -v69
	;; [unrolled: 1-line block ×9, first 2 shown]
	v_pack_b32_f16 v74, v28, v73
	v_pack_b32_f16 v79, v27, v62
	v_pack_b32_f16 v75, v34, v69
	v_pack_b32_f16 v80, v33, v71
	v_pack_b32_f16 v76, v30, v65
	v_pack_b32_f16 v81, v29, v68
	v_pack_b32_f16 v77, v32, v67
	v_pack_b32_f16 v82, v31, v66
	v_pack_b32_f16 v78, v36, v72
	v_pack_b32_f16 v83, v35, v70
	ds_write2_b32 v51, v79, v74 offset1:2
	ds_write2_b32 v52, v80, v75 offset1:2
	;; [unrolled: 1-line block ×5, first 2 shown]
	s_waitcnt lgkmcnt(0)
	s_barrier
	buffer_gl0_inv
	s_and_saveexec_b32 s0, vcc_lo
	s_cbranch_execz .LBB0_7
; %bb.6:
	ds_read2_b32 v[27:28], v48 offset1:100
	ds_read2_b32 v[33:34], v61 offset0:72 offset1:172
	ds_read2_b32 v[29:30], v64 offset0:144 offset1:244
	;; [unrolled: 1-line block ×4, first 2 shown]
	ds_read_b32 v58, v48 offset:4000
	s_waitcnt lgkmcnt(5)
	v_lshrrev_b32_e32 v62, 16, v27
	v_lshrrev_b32_e32 v73, 16, v28
	s_waitcnt lgkmcnt(4)
	v_lshrrev_b32_e32 v71, 16, v33
	v_lshrrev_b32_e32 v69, 16, v34
	;; [unrolled: 3-line block ×5, first 2 shown]
	s_waitcnt lgkmcnt(0)
	v_lshrrev_b32_e32 v59, 16, v58
.LBB0_7:
	s_or_b32 exec_lo, exec_lo, s0
	s_barrier
	buffer_gl0_inv
	s_and_saveexec_b32 s0, vcc_lo
	s_cbranch_execz .LBB0_9
; %bb.8:
	v_mul_f16_sdwa v53, v4, v73 dst_sel:DWORD dst_unused:UNUSED_PAD src0_sel:WORD_1 src1_sel:DWORD
	v_mul_f16_sdwa v51, v26, v59 dst_sel:DWORD dst_unused:UNUSED_PAD src0_sel:WORD_1 src1_sel:DWORD
	;; [unrolled: 1-line block ×5, first 2 shown]
	v_fmac_f16_e32 v53, v4, v28
	v_mul_f16_sdwa v28, v25, v72 dst_sel:DWORD dst_unused:UNUSED_PAD src0_sel:WORD_1 src1_sel:DWORD
	v_fmac_f16_e32 v51, v26, v58
	v_fma_f16 v54, v4, v73, -v54
	v_mul_f16_sdwa v4, v25, v36 dst_sel:DWORD dst_unused:UNUSED_PAD src0_sel:WORD_1 src1_sel:DWORD
	v_fma_f16 v26, v26, v59, -v52
	v_fmac_f16_e32 v28, v25, v36
	v_mul_f16_sdwa v36, v5, v33 dst_sel:DWORD dst_unused:UNUSED_PAD src0_sel:WORD_1 src1_sel:DWORD
	v_sub_f16_e32 v52, v53, v51
	v_fmac_f16_e32 v55, v5, v33
	v_fma_f16 v4, v25, v72, -v4
	v_mul_f16_sdwa v61, v6, v69 dst_sel:DWORD dst_unused:UNUSED_PAD src0_sel:WORD_1 src1_sel:DWORD
	v_fma_f16 v5, v5, v71, -v36
	v_mul_f16_sdwa v63, v3, v70 dst_sel:DWORD dst_unused:UNUSED_PAD src0_sel:WORD_1 src1_sel:DWORD
	v_mul_f16_sdwa v71, v7, v68 dst_sel:DWORD dst_unused:UNUSED_PAD src0_sel:WORD_1 src1_sel:DWORD
	;; [unrolled: 1-line block ×3, first 2 shown]
	v_mul_f16_e32 v58, 0xbb47, v52
	v_add_f16_e32 v59, v26, v54
	v_sub_f16_e32 v33, v55, v28
	v_fmac_f16_e32 v61, v6, v34
	v_fmac_f16_e32 v63, v3, v35
	v_mul_f16_sdwa v35, v3, v35 dst_sel:DWORD dst_unused:UNUSED_PAD src0_sel:WORD_1 src1_sel:DWORD
	v_mul_f16_sdwa v34, v6, v34 dst_sel:DWORD dst_unused:UNUSED_PAD src0_sel:WORD_1 src1_sel:DWORD
	v_fmac_f16_e32 v71, v7, v29
	v_fmac_f16_e32 v72, v2, v32
	v_mul_f16_sdwa v32, v2, v32 dst_sel:DWORD dst_unused:UNUSED_PAD src0_sel:WORD_1 src1_sel:DWORD
	v_mul_f16_sdwa v29, v7, v29 dst_sel:DWORD dst_unused:UNUSED_PAD src0_sel:WORD_1 src1_sel:DWORD
	v_fmamk_f16 v25, v59, 0x36a6, v58
	v_mul_f16_e32 v36, 0xba0c, v33
	v_add_f16_e32 v60, v4, v5
	v_sub_f16_e32 v73, v61, v63
	v_fma_f16 v3, v3, v70, -v35
	v_fma_f16 v6, v6, v69, -v34
	;; [unrolled: 1-line block ×4, first 2 shown]
	v_mul_f16_sdwa v67, v0, v65 dst_sel:DWORD dst_unused:UNUSED_PAD src0_sel:WORD_1 src1_sel:DWORD
	v_mul_f16_sdwa v68, v1, v66 dst_sel:DWORD dst_unused:UNUSED_PAD src0_sel:WORD_1 src1_sel:DWORD
	v_add_f16_e32 v25, v62, v25
	v_fmamk_f16 v64, v60, 0xb93d, v36
	v_mul_f16_e32 v34, 0x3482, v73
	v_add_f16_e32 v35, v3, v6
	v_sub_f16_e32 v69, v71, v72
	v_fmac_f16_e32 v67, v0, v30
	v_fmac_f16_e32 v68, v1, v31
	v_mul_f16_sdwa v31, v1, v31 dst_sel:DWORD dst_unused:UNUSED_PAD src0_sel:WORD_1 src1_sel:DWORD
	v_mul_f16_sdwa v30, v0, v30 dst_sel:DWORD dst_unused:UNUSED_PAD src0_sel:WORD_1 src1_sel:DWORD
	v_add_f16_e32 v25, v64, v25
	v_fmamk_f16 v29, v35, 0xbbad, v34
	v_mul_f16_e32 v32, 0x3beb, v69
	v_add_f16_e32 v64, v2, v7
	v_sub_f16_e32 v75, v67, v68
	v_fma_f16 v1, v1, v66, -v31
	v_fma_f16 v0, v0, v65, -v30
	v_add_f16_e32 v25, v29, v25
	v_fmamk_f16 v29, v64, 0xb08e, v32
	v_mul_f16_e32 v66, 0x3853, v75
	v_add_f16_e32 v70, v51, v53
	v_add_f16_e32 v78, v1, v0
	v_sub_f16_e32 v76, v5, v4
	v_add_f16_e32 v25, v29, v25
	v_sub_f16_e32 v29, v54, v26
	v_mul_f16_e32 v87, 0x3482, v33
	v_fmamk_f16 v82, v78, 0x3abb, v66
	v_add_f16_e32 v31, v28, v55
	v_mul_f16_e32 v65, 0xba0c, v76
	v_mul_f16_e32 v74, 0xbb47, v29
	v_sub_f16_e32 v77, v6, v3
	v_add_f16_e32 v25, v82, v25
	v_mul_f16_e32 v82, 0xbbeb, v52
	v_fmamk_f16 v91, v60, 0xbbad, v87
	v_fma_f16 v30, v70, 0x36a6, -v74
	v_mul_f16_e32 v92, 0x3b47, v73
	v_fma_f16 v79, v31, 0xb93d, -v65
	v_fmamk_f16 v86, v59, 0xb08e, v82
	v_add_f16_e32 v80, v63, v61
	v_add_f16_e32 v30, v27, v30
	v_mul_f16_e32 v81, 0x3482, v77
	v_mul_f16_e32 v94, 0xb853, v69
	v_add_f16_e32 v86, v62, v86
	v_mul_f16_e32 v96, 0xba0c, v75
	v_add_f16_e32 v30, v79, v30
	v_sub_f16_e32 v79, v7, v2
	v_fma_f16 v83, v80, 0xbbad, -v81
	v_add_f16_e32 v86, v91, v86
	v_fmamk_f16 v91, v35, 0x36a6, v92
	v_add_f16_e32 v84, v72, v71
	v_mul_f16_e32 v85, 0x3beb, v79
	v_add_f16_e32 v30, v83, v30
	v_sub_f16_e32 v83, v0, v1
	v_add_f16_e32 v86, v91, v86
	v_fmamk_f16 v91, v64, 0x3abb, v94
	v_mul_f16_e32 v99, 0xba0c, v52
	v_fma_f16 v88, v84, 0xb08e, -v85
	v_add_f16_e32 v89, v68, v67
	v_mul_f16_e32 v90, 0x3853, v83
	v_add_f16_e32 v86, v91, v86
	v_fmamk_f16 v91, v78, 0xb93d, v96
	v_mul_f16_e32 v101, 0x3beb, v33
	v_add_f16_e32 v30, v88, v30
	v_fma_f16 v88, v89, 0x3abb, -v90
	v_mul_f16_e32 v93, 0xbbeb, v29
	v_add_f16_e32 v86, v91, v86
	v_fmamk_f16 v91, v59, 0xb93d, v99
	v_fmamk_f16 v103, v60, 0xb08e, v101
	v_mul_f16_e32 v104, 0xb853, v73
	v_add_f16_e32 v30, v88, v30
	v_fma_f16 v88, v70, 0xb08e, -v93
	v_add_f16_e32 v91, v62, v91
	v_mul_f16_e32 v95, 0x3482, v76
	v_mul_f16_e32 v106, 0xb482, v69
	v_fma_f16 v58, v59, 0x36a6, -v58
	v_add_f16_e32 v88, v27, v88
	v_add_f16_e32 v91, v103, v91
	v_fmamk_f16 v103, v35, 0x3abb, v104
	v_fma_f16 v97, v31, 0xbbad, -v95
	v_mul_f16_e32 v98, 0x3b47, v77
	v_mul_f16_e32 v108, 0x3b47, v75
	v_add_f16_e32 v58, v62, v58
	v_add_f16_e32 v91, v103, v91
	v_fmamk_f16 v103, v64, 0xbbad, v106
	v_fma_f16 v36, v60, 0xb93d, -v36
	v_add_f16_e32 v88, v97, v88
	v_fma_f16 v97, v80, 0x36a6, -v98
	v_mul_f16_e32 v100, 0xb853, v79
	v_add_f16_e32 v91, v103, v91
	v_fmamk_f16 v103, v78, 0x36a6, v108
	v_mul_f16_e32 v111, 0xb482, v52
	v_add_f16_e32 v36, v36, v58
	v_fma_f16 v34, v35, 0xbbad, -v34
	v_add_f16_e32 v88, v97, v88
	v_fma_f16 v97, v84, 0x3abb, -v100
	v_mul_f16_e32 v102, 0xba0c, v83
	v_add_f16_e32 v91, v103, v91
	v_fmamk_f16 v103, v59, 0xbbad, v111
	v_mul_f16_e32 v113, 0x3853, v33
	v_fma_f16 v111, v59, 0xbbad, -v111
	v_fma_f16 v99, v59, 0xb93d, -v99
	;; [unrolled: 1-line block ×3, first 2 shown]
	v_fmac_f16_e32 v74, 0x36a6, v70
	v_add_f16_e32 v34, v34, v36
	v_fma_f16 v32, v64, 0xb08e, -v32
	v_mul_f16_e32 v36, 0x3abb, v59
	v_add_f16_e32 v88, v97, v88
	v_fma_f16 v97, v89, 0xb93d, -v102
	v_mul_f16_e32 v105, 0xba0c, v29
	v_add_f16_e32 v103, v62, v103
	v_fmamk_f16 v115, v60, 0x3abb, v113
	v_mul_f16_e32 v116, 0xba0c, v73
	v_add_f16_e32 v111, v62, v111
	v_fma_f16 v113, v60, 0x3abb, -v113
	v_add_f16_e32 v99, v62, v99
	v_fma_f16 v101, v60, 0xb08e, -v101
	;; [unrolled: 2-line block ×3, first 2 shown]
	v_add_f16_e32 v74, v27, v74
	v_fmac_f16_e32 v65, 0xb93d, v31
	v_add_f16_e32 v32, v32, v34
	v_fmamk_f16 v34, v52, 0x3853, v36
	v_mul_f16_e32 v60, 0x36a6, v60
	v_add_f16_e32 v88, v97, v88
	v_fma_f16 v97, v70, 0xb93d, -v105
	v_mul_f16_e32 v107, 0x3beb, v76
	v_add_f16_e32 v103, v115, v103
	v_fmamk_f16 v115, v35, 0xb93d, v116
	v_add_f16_e32 v111, v113, v111
	v_fma_f16 v113, v35, 0xb93d, -v116
	v_add_f16_e32 v99, v101, v99
	v_fma_f16 v101, v35, 0x3abb, -v104
	;; [unrolled: 2-line block ×4, first 2 shown]
	v_add_f16_e32 v34, v62, v34
	v_fmamk_f16 v66, v33, 0x3b47, v60
	v_mul_f16_e32 v35, 0xb08e, v35
	v_add_f16_e32 v53, v27, v53
	v_add_f16_e32 v97, v27, v97
	v_fma_f16 v109, v31, 0xb08e, -v107
	v_mul_f16_e32 v110, 0xb853, v77
	v_mul_f16_e32 v117, 0xb482, v29
	;; [unrolled: 1-line block ×3, first 2 shown]
	v_add_f16_e32 v32, v65, v32
	v_add_f16_e32 v34, v66, v34
	v_fmamk_f16 v65, v73, 0x3beb, v35
	v_mul_f16_e32 v29, 0xb853, v29
	v_add_f16_e32 v53, v55, v53
	v_add_f16_e32 v54, v54, v62
	;; [unrolled: 1-line block ×3, first 2 shown]
	v_fma_f16 v109, v80, 0x3abb, -v110
	v_mul_f16_e32 v112, 0xb482, v79
	v_add_f16_e32 v103, v115, v103
	v_fmamk_f16 v115, v64, 0x36a6, v118
	v_add_f16_e32 v111, v113, v111
	v_fma_f16 v113, v64, 0x36a6, -v118
	v_add_f16_e32 v99, v101, v99
	v_fma_f16 v101, v64, 0xbbad, -v106
	;; [unrolled: 2-line block ×3, first 2 shown]
	v_mul_f16_e32 v64, 0xb93d, v64
	v_add_f16_e32 v34, v65, v34
	v_fmamk_f16 v65, v70, 0x3abb, v29
	v_mul_f16_e32 v66, 0xbb47, v76
	v_add_f16_e32 v53, v61, v53
	v_add_f16_e32 v5, v5, v54
	;; [unrolled: 1-line block ×3, first 2 shown]
	v_fma_f16 v109, v84, 0xbbad, -v112
	v_mul_f16_e32 v114, 0x3b47, v83
	v_fmamk_f16 v55, v69, 0x3a0c, v64
	v_add_f16_e32 v65, v27, v65
	v_fmamk_f16 v74, v31, 0x36a6, v66
	v_mul_f16_e32 v61, 0xbbeb, v77
	v_add_f16_e32 v53, v71, v53
	v_add_f16_e32 v5, v6, v5
	v_add_f16_e32 v97, v109, v97
	v_fma_f16 v109, v89, 0x36a6, -v114
	v_add_f16_e32 v34, v55, v34
	v_add_f16_e32 v54, v74, v65
	v_fmamk_f16 v55, v80, 0xb08e, v61
	v_mul_f16_e32 v6, 0xba0c, v79
	v_add_f16_e32 v53, v67, v53
	v_add_f16_e32 v5, v7, v5
	;; [unrolled: 1-line block ×3, first 2 shown]
	v_fma_f16 v109, v70, 0xbbad, -v117
	v_mul_f16_e32 v119, 0x3853, v76
	v_mul_f16_e32 v120, 0xbbeb, v75
	v_add_f16_e32 v54, v55, v54
	v_fmamk_f16 v7, v84, 0xb93d, v6
	v_mul_f16_e32 v55, 0xb482, v83
	v_add_f16_e32 v53, v68, v53
	v_add_f16_e32 v0, v0, v5
	;; [unrolled: 1-line block ×3, first 2 shown]
	v_fma_f16 v121, v31, 0x3abb, -v119
	v_mul_f16_e32 v122, 0xba0c, v77
	v_add_f16_e32 v103, v115, v103
	v_fmamk_f16 v115, v78, 0xb08e, v120
	v_add_f16_e32 v5, v7, v54
	v_fmamk_f16 v7, v89, 0xbbad, v55
	v_add_f16_e32 v53, v72, v53
	v_fmac_f16_e32 v93, 0xb08e, v70
	v_add_f16_e32 v0, v1, v0
	v_add_f16_e32 v109, v121, v109
	v_fma_f16 v121, v80, 0xb93d, -v122
	v_add_f16_e32 v103, v115, v103
	v_mul_f16_e32 v115, 0x3b47, v79
	v_fmac_f16_e32 v117, 0xbbad, v70
	v_fmac_f16_e32 v105, 0xb93d, v70
	;; [unrolled: 1-line block ×3, first 2 shown]
	v_add_f16_e32 v1, v7, v5
	v_add_f16_e32 v5, v63, v53
	v_fma_f16 v7, v70, 0x3abb, -v29
	v_add_f16_e32 v93, v27, v93
	v_fmac_f16_e32 v95, 0xbbad, v31
	v_add_f16_e32 v0, v2, v0
	v_add_f16_e32 v109, v121, v109
	v_fma_f16 v116, v84, 0x36a6, -v115
	v_mul_f16_e32 v121, 0xbbeb, v83
	v_add_f16_e32 v117, v27, v117
	v_fmac_f16_e32 v119, 0x3abb, v31
	v_add_f16_e32 v105, v27, v105
	v_fmac_f16_e32 v107, 0xb08e, v31
	;; [unrolled: 2-line block ×3, first 2 shown]
	v_add_f16_e32 v5, v28, v5
	v_add_f16_e32 v7, v27, v7
	v_fma_f16 v27, v31, 0x36a6, -v66
	v_add_f16_e32 v93, v95, v93
	v_fmac_f16_e32 v98, 0x36a6, v80
	v_fmac_f16_e32 v81, 0xbbad, v80
	v_mul_f16_e32 v65, 0xbbad, v78
	v_add_f16_e32 v0, v3, v0
	v_add_f16_e32 v109, v116, v109
	v_fma_f16 v116, v89, 0xb08e, -v121
	v_add_f16_e32 v117, v119, v117
	v_fmac_f16_e32 v122, 0xb93d, v80
	v_add_f16_e32 v105, v107, v105
	v_fmac_f16_e32 v110, 0x3abb, v80
	;; [unrolled: 2-line block ×3, first 2 shown]
	v_add_f16_e32 v3, v51, v5
	v_add_f16_e32 v5, v27, v7
	v_fma_f16 v7, v80, 0xb08e, -v61
	v_add_f16_e32 v58, v98, v93
	v_fmac_f16_e32 v100, 0x3abb, v84
	v_add_f16_e32 v59, v81, v59
	v_fmac_f16_e32 v85, 0xb08e, v84
	v_fmamk_f16 v67, v75, 0x3482, v65
	v_add_f16_e32 v0, v4, v0
	v_mul_u32_u24_e32 v4, 44, v50
	v_add_f16_e32 v111, v113, v111
	v_fma_f16 v113, v78, 0xb08e, -v120
	v_add_f16_e32 v109, v116, v109
	v_add_f16_e32 v116, v122, v117
	v_fmac_f16_e32 v115, 0x36a6, v84
	v_add_f16_e32 v105, v110, v105
	v_fmac_f16_e32 v112, 0xbbad, v84
	;; [unrolled: 2-line block ×3, first 2 shown]
	v_add_f16_e32 v5, v7, v5
	v_fma_f16 v6, v84, 0xb93d, -v6
	v_add_f16_e32 v82, v87, v82
	v_fma_f16 v87, v78, 0xb93d, -v96
	v_add_f16_e32 v58, v100, v58
	v_fmac_f16_e32 v102, 0xb93d, v89
	v_add_f16_e32 v59, v85, v59
	v_fmac_f16_e32 v90, 0x3abb, v89
	v_add_f16_e32 v34, v67, v34
	v_add_f16_e32 v0, v26, v0
	v_or_b32_e32 v4, v4, v49
	v_add_f16_e32 v111, v113, v111
	v_add_f16_e32 v113, v115, v116
	v_fmac_f16_e32 v121, 0xb08e, v89
	v_add_f16_e32 v99, v101, v99
	v_fma_f16 v101, v78, 0x36a6, -v108
	v_add_f16_e32 v92, v112, v105
	v_fmac_f16_e32 v114, 0x36a6, v89
	v_add_f16_e32 v2, v64, v2
	v_fmac_f16_e32 v65, 0xb482, v75
	v_add_f16_e32 v5, v6, v5
	v_fma_f16 v6, v89, 0xbbad, -v55
	v_add_f16_e32 v82, v87, v82
	v_lshlrev_b32_e32 v4, 2, v4
	v_pack_b32_f16 v0, v3, v0
	v_pack_b32_f16 v1, v1, v34
	v_add_f16_e32 v3, v90, v59
	v_add_f16_e32 v7, v102, v58
	;; [unrolled: 1-line block ×7, first 2 shown]
	ds_write2_b32 v4, v0, v1 offset1:4
	v_pack_b32_f16 v0, v3, v32
	v_pack_b32_f16 v1, v7, v82
	;; [unrolled: 1-line block ×9, first 2 shown]
	ds_write2_b32 v4, v0, v1 offset0:8 offset1:12
	ds_write2_b32 v4, v3, v6 offset0:16 offset1:20
	;; [unrolled: 1-line block ×4, first 2 shown]
	ds_write_b32 v4, v2 offset:160
.LBB0_9:
	s_or_b32 exec_lo, exec_lo, s0
	v_add_nc_u32_e32 v3, 0x200, v48
	v_add_nc_u32_e32 v0, 0x600, v48
	;; [unrolled: 1-line block ×4, first 2 shown]
	s_waitcnt lgkmcnt(0)
	s_barrier
	buffer_gl0_inv
	ds_read2_b32 v[5:6], v48 offset1:110
	ds_read2_b32 v[25:26], v3 offset0:92 offset1:202
	ds_read2_b32 v[27:28], v0 offset0:56 offset1:166
	;; [unrolled: 1-line block ×4, first 2 shown]
	s_waitcnt lgkmcnt(0)
	s_barrier
	buffer_gl0_inv
	s_mov_b32 s2, 0xdca01dca
	s_mov_b32 s3, 0x3f4dca01
	s_mul_i32 s7, s8, 0xfffff920
	v_lshrrev_b32_e32 v33, 16, v25
	v_lshrrev_b32_e32 v34, 16, v27
	;; [unrolled: 1-line block ×3, first 2 shown]
	v_mul_f16_sdwa v52, v12, v25 dst_sel:DWORD dst_unused:UNUSED_PAD src0_sel:WORD_1 src1_sel:DWORD
	v_mul_f16_sdwa v54, v13, v27 dst_sel:DWORD dst_unused:UNUSED_PAD src0_sel:WORD_1 src1_sel:DWORD
	v_lshrrev_b32_e32 v36, 16, v31
	v_lshrrev_b32_e32 v49, 16, v26
	v_mul_f16_sdwa v55, v14, v29 dst_sel:DWORD dst_unused:UNUSED_PAD src0_sel:WORD_1 src1_sel:DWORD
	v_mul_f16_sdwa v58, v12, v33 dst_sel:DWORD dst_unused:UNUSED_PAD src0_sel:WORD_1 src1_sel:DWORD
	v_fma_f16 v33, v12, v33, -v52
	v_mul_f16_sdwa v52, v13, v34 dst_sel:DWORD dst_unused:UNUSED_PAD src0_sel:WORD_1 src1_sel:DWORD
	v_fma_f16 v34, v13, v34, -v54
	v_mul_f16_sdwa v54, v14, v35 dst_sel:DWORD dst_unused:UNUSED_PAD src0_sel:WORD_1 src1_sel:DWORD
	v_lshrrev_b32_e32 v50, 16, v28
	v_mul_f16_sdwa v59, v15, v36 dst_sel:DWORD dst_unused:UNUSED_PAD src0_sel:WORD_1 src1_sel:DWORD
	v_fma_f16 v35, v14, v35, -v55
	v_fmac_f16_e32 v58, v12, v25
	v_fmac_f16_e32 v52, v13, v27
	;; [unrolled: 1-line block ×3, first 2 shown]
	v_mul_f16_sdwa v12, v15, v31 dst_sel:DWORD dst_unused:UNUSED_PAD src0_sel:WORD_1 src1_sel:DWORD
	v_mul_f16_sdwa v13, v8, v49 dst_sel:DWORD dst_unused:UNUSED_PAD src0_sel:WORD_1 src1_sel:DWORD
	;; [unrolled: 1-line block ×3, first 2 shown]
	v_lshrrev_b32_e32 v51, 16, v30
	v_lshrrev_b32_e32 v53, 16, v32
	v_fmac_f16_e32 v59, v15, v31
	v_mul_f16_sdwa v25, v9, v50 dst_sel:DWORD dst_unused:UNUSED_PAD src0_sel:WORD_1 src1_sel:DWORD
	v_mul_f16_sdwa v27, v9, v28 dst_sel:DWORD dst_unused:UNUSED_PAD src0_sel:WORD_1 src1_sel:DWORD
	v_fma_f16 v12, v15, v36, -v12
	v_fmac_f16_e32 v13, v8, v26
	v_fma_f16 v8, v8, v49, -v14
	v_add_f16_e32 v14, v52, v54
	v_lshrrev_b32_e32 v1, 16, v5
	v_fmac_f16_e32 v25, v9, v28
	v_fma_f16 v9, v9, v50, -v27
	v_mul_f16_sdwa v15, v10, v51 dst_sel:DWORD dst_unused:UNUSED_PAD src0_sel:WORD_1 src1_sel:DWORD
	v_mul_f16_sdwa v26, v10, v30 dst_sel:DWORD dst_unused:UNUSED_PAD src0_sel:WORD_1 src1_sel:DWORD
	v_mul_f16_sdwa v27, v11, v53 dst_sel:DWORD dst_unused:UNUSED_PAD src0_sel:WORD_1 src1_sel:DWORD
	v_add_f16_e32 v28, v5, v58
	v_fma_f16 v14, -0.5, v14, v5
	v_sub_f16_e32 v29, v33, v12
	v_add_f16_e32 v49, v58, v59
	v_fmac_f16_e32 v15, v10, v30
	v_fma_f16 v10, v10, v51, -v26
	v_fmac_f16_e32 v27, v11, v32
	v_add_f16_e32 v26, v28, v52
	v_fmamk_f16 v28, v29, 0xbb9c, v14
	v_sub_f16_e32 v30, v34, v35
	v_sub_f16_e32 v31, v58, v52
	;; [unrolled: 1-line block ×3, first 2 shown]
	v_mul_f16_sdwa v32, v11, v32 dst_sel:DWORD dst_unused:UNUSED_PAD src0_sel:WORD_1 src1_sel:DWORD
	v_fma_f16 v5, -0.5, v49, v5
	v_fmac_f16_e32 v14, 0x3b9c, v29
	v_add_f16_e32 v50, v1, v33
	v_fmac_f16_e32 v28, 0xb8b4, v30
	v_add_f16_e32 v31, v31, v36
	v_fma_f16 v11, v11, v53, -v32
	v_fmamk_f16 v32, v30, 0x3b9c, v5
	v_sub_f16_e32 v36, v52, v58
	v_sub_f16_e32 v49, v54, v59
	v_fmac_f16_e32 v14, 0x38b4, v30
	v_add_f16_e32 v51, v34, v35
	v_fmac_f16_e32 v5, 0xbb9c, v30
	v_add_f16_e32 v30, v50, v34
	v_fmac_f16_e32 v28, 0x34f2, v31
	v_fmac_f16_e32 v32, 0xb8b4, v29
	v_add_f16_e32 v36, v36, v49
	v_fma_f16 v49, -0.5, v51, v1
	v_sub_f16_e32 v50, v58, v59
	v_fmac_f16_e32 v14, 0x34f2, v31
	v_fmac_f16_e32 v5, 0x38b4, v29
	v_add_f16_e32 v29, v30, v35
	v_add_f16_e32 v31, v33, v12
	v_fmamk_f16 v30, v50, 0x3b9c, v49
	v_sub_f16_e32 v51, v52, v54
	v_sub_f16_e32 v52, v33, v34
	;; [unrolled: 1-line block ×3, first 2 shown]
	v_fmac_f16_e32 v1, -0.5, v31
	v_add_f16_e32 v29, v29, v12
	v_fmac_f16_e32 v49, 0xbb9c, v50
	v_sub_f16_e32 v33, v34, v33
	v_sub_f16_e32 v12, v35, v12
	v_add_f16_e32 v34, v25, v15
	v_fmac_f16_e32 v32, 0x34f2, v36
	v_fmac_f16_e32 v5, 0x34f2, v36
	;; [unrolled: 1-line block ×3, first 2 shown]
	v_add_f16_e32 v31, v52, v53
	v_fmamk_f16 v36, v51, 0xbb9c, v1
	v_fmac_f16_e32 v49, 0xb8b4, v51
	v_add_f16_e32 v12, v33, v12
	v_fmac_f16_e32 v1, 0x3b9c, v51
	v_add_f16_e32 v33, v6, v13
	v_fma_f16 v34, -0.5, v34, v6
	v_sub_f16_e32 v35, v8, v11
	v_fmac_f16_e32 v30, 0x34f2, v31
	v_fmac_f16_e32 v36, 0x38b4, v50
	;; [unrolled: 1-line block ×4, first 2 shown]
	v_add_f16_e32 v31, v33, v25
	v_fmamk_f16 v33, v35, 0xbb9c, v34
	v_sub_f16_e32 v50, v9, v10
	v_sub_f16_e32 v51, v13, v25
	;; [unrolled: 1-line block ×3, first 2 shown]
	v_fmac_f16_e32 v34, 0x3b9c, v35
	v_add_f16_e32 v53, v13, v27
	v_lshrrev_b32_e32 v7, 16, v6
	v_add_f16_e32 v31, v31, v15
	v_fmac_f16_e32 v33, 0xb8b4, v50
	v_add_f16_e32 v51, v51, v52
	v_fmac_f16_e32 v34, 0x38b4, v50
	v_fmac_f16_e32 v6, -0.5, v53
	v_sub_f16_e32 v52, v25, v13
	v_sub_f16_e32 v53, v15, v27
	v_fmac_f16_e32 v36, 0x34f2, v12
	v_fmac_f16_e32 v1, 0x34f2, v12
	v_add_f16_e32 v12, v31, v27
	v_fmac_f16_e32 v33, 0x34f2, v51
	v_fmac_f16_e32 v34, 0x34f2, v51
	v_fmamk_f16 v31, v50, 0x3b9c, v6
	v_add_f16_e32 v51, v9, v10
	v_fmac_f16_e32 v6, 0xbb9c, v50
	v_add_f16_e32 v50, v7, v8
	v_sub_f16_e32 v13, v13, v27
	v_add_f16_e32 v27, v52, v53
	v_add_f16_e32 v52, v8, v11
	v_fma_f16 v51, -0.5, v51, v7
	v_fmac_f16_e32 v31, 0xb8b4, v35
	v_fmac_f16_e32 v6, 0x38b4, v35
	v_add_f16_e32 v35, v50, v9
	v_sub_f16_e32 v15, v25, v15
	v_fmac_f16_e32 v7, -0.5, v52
	v_add_f16_e32 v26, v26, v54
	v_fmamk_f16 v50, v13, 0x3b9c, v51
	v_fmac_f16_e32 v31, 0x34f2, v27
	v_fmac_f16_e32 v6, 0x34f2, v27
	v_add_f16_e32 v25, v35, v10
	v_sub_f16_e32 v27, v8, v9
	v_sub_f16_e32 v35, v11, v10
	v_fmac_f16_e32 v51, 0xbb9c, v13
	v_fmamk_f16 v52, v15, 0xbb9c, v7
	v_sub_f16_e32 v8, v9, v8
	v_sub_f16_e32 v9, v10, v11
	v_fmac_f16_e32 v7, 0x3b9c, v15
	v_add_f16_e32 v26, v26, v59
	v_fmac_f16_e32 v50, 0x38b4, v15
	v_add_f16_e32 v10, v27, v35
	v_fmac_f16_e32 v51, 0xb8b4, v15
	v_fmac_f16_e32 v52, 0x38b4, v13
	v_add_f16_e32 v8, v8, v9
	v_fmac_f16_e32 v7, 0xb8b4, v13
	v_add_f16_e32 v9, v25, v11
	v_fmac_f16_e32 v50, 0x34f2, v10
	v_fmac_f16_e32 v51, 0x34f2, v10
	v_pack_b32_f16 v10, v26, v29
	v_pack_b32_f16 v11, v28, v30
	v_fmac_f16_e32 v52, 0x34f2, v8
	v_fmac_f16_e32 v7, 0x34f2, v8
	v_pack_b32_f16 v8, v32, v36
	v_pack_b32_f16 v1, v5, v1
	;; [unrolled: 1-line block ×3, first 2 shown]
	ds_write2_b32 v57, v10, v11 offset1:44
	v_pack_b32_f16 v9, v12, v9
	v_pack_b32_f16 v10, v33, v50
	;; [unrolled: 1-line block ×5, first 2 shown]
	ds_write2_b32 v57, v8, v1 offset0:88 offset1:132
	ds_write_b32 v57, v5 offset:704
	ds_write2_b32 v56, v9, v10 offset1:44
	ds_write2_b32 v56, v11, v6 offset0:88 offset1:132
	ds_write_b32 v56, v7 offset:704
	s_waitcnt lgkmcnt(0)
	s_barrier
	buffer_gl0_inv
	ds_read2_b32 v[5:6], v48 offset1:110
	ds_read2_b32 v[7:8], v3 offset0:92 offset1:202
	ds_read2_b32 v[9:10], v0 offset0:56 offset1:166
	;; [unrolled: 1-line block ×4, first 2 shown]
	s_waitcnt lgkmcnt(4)
	v_lshrrev_b32_e32 v1, 16, v5
	s_waitcnt lgkmcnt(3)
	v_lshrrev_b32_e32 v15, 16, v7
	s_waitcnt lgkmcnt(2)
	v_lshrrev_b32_e32 v25, 16, v9
	s_waitcnt lgkmcnt(1)
	v_lshrrev_b32_e32 v26, 16, v11
	s_waitcnt lgkmcnt(0)
	v_lshrrev_b32_e32 v27, 16, v13
	v_mul_f16_sdwa v31, v20, v7 dst_sel:DWORD dst_unused:UNUSED_PAD src0_sel:WORD_1 src1_sel:DWORD
	v_mul_f16_sdwa v30, v20, v15 dst_sel:DWORD dst_unused:UNUSED_PAD src0_sel:WORD_1 src1_sel:DWORD
	v_lshrrev_b32_e32 v29, 16, v8
	v_lshrrev_b32_e32 v32, 16, v10
	v_mul_f16_sdwa v36, v23, v27 dst_sel:DWORD dst_unused:UNUSED_PAD src0_sel:WORD_1 src1_sel:DWORD
	v_mul_f16_sdwa v35, v22, v11 dst_sel:DWORD dst_unused:UNUSED_PAD src0_sel:WORD_1 src1_sel:DWORD
	v_fmac_f16_e32 v30, v20, v7
	v_fma_f16 v7, v20, v15, -v31
	v_mul_f16_sdwa v15, v21, v25 dst_sel:DWORD dst_unused:UNUSED_PAD src0_sel:WORD_1 src1_sel:DWORD
	v_mul_f16_sdwa v20, v21, v9 dst_sel:DWORD dst_unused:UNUSED_PAD src0_sel:WORD_1 src1_sel:DWORD
	;; [unrolled: 1-line block ×3, first 2 shown]
	v_fmac_f16_e32 v36, v23, v13
	v_mul_f16_sdwa v13, v23, v13 dst_sel:DWORD dst_unused:UNUSED_PAD src0_sel:WORD_1 src1_sel:DWORD
	v_fmac_f16_e32 v15, v21, v9
	v_fma_f16 v9, v21, v25, -v20
	v_fmac_f16_e32 v31, v22, v11
	v_mul_f16_sdwa v20, v16, v29 dst_sel:DWORD dst_unused:UNUSED_PAD src0_sel:WORD_1 src1_sel:DWORD
	v_mul_f16_sdwa v21, v16, v8 dst_sel:DWORD dst_unused:UNUSED_PAD src0_sel:WORD_1 src1_sel:DWORD
	v_lshrrev_b32_e32 v33, 16, v12
	v_lshrrev_b32_e32 v34, 16, v14
	v_fma_f16 v11, v22, v26, -v35
	v_mul_f16_sdwa v22, v17, v32 dst_sel:DWORD dst_unused:UNUSED_PAD src0_sel:WORD_1 src1_sel:DWORD
	v_mul_f16_sdwa v25, v17, v10 dst_sel:DWORD dst_unused:UNUSED_PAD src0_sel:WORD_1 src1_sel:DWORD
	v_fma_f16 v13, v23, v27, -v13
	v_fmac_f16_e32 v20, v16, v8
	v_fma_f16 v8, v16, v29, -v21
	v_add_f16_e32 v16, v15, v31
	v_fmac_f16_e32 v22, v17, v10
	v_fma_f16 v10, v17, v32, -v25
	v_mul_f16_sdwa v17, v18, v33 dst_sel:DWORD dst_unused:UNUSED_PAD src0_sel:WORD_1 src1_sel:DWORD
	v_mul_f16_sdwa v21, v18, v12 dst_sel:DWORD dst_unused:UNUSED_PAD src0_sel:WORD_1 src1_sel:DWORD
	;; [unrolled: 1-line block ×3, first 2 shown]
	v_add_f16_e32 v25, v5, v30
	v_fma_f16 v16, -0.5, v16, v5
	v_sub_f16_e32 v26, v7, v13
	v_fmac_f16_e32 v17, v18, v12
	v_fma_f16 v12, v18, v33, -v21
	v_fmac_f16_e32 v23, v19, v14
	v_add_f16_e32 v18, v25, v15
	v_fmamk_f16 v21, v26, 0xbb9c, v16
	v_sub_f16_e32 v25, v9, v11
	v_sub_f16_e32 v27, v30, v15
	;; [unrolled: 1-line block ×3, first 2 shown]
	v_add_f16_e32 v32, v30, v36
	v_mul_f16_sdwa v14, v19, v14 dst_sel:DWORD dst_unused:UNUSED_PAD src0_sel:WORD_1 src1_sel:DWORD
	v_fmac_f16_e32 v16, 0x3b9c, v26
	v_fmac_f16_e32 v21, 0xb8b4, v25
	v_add_f16_e32 v27, v27, v29
	v_fma_f16 v5, -0.5, v32, v5
	v_fma_f16 v14, v19, v34, -v14
	v_sub_f16_e32 v29, v15, v30
	v_sub_f16_e32 v32, v31, v36
	v_fmac_f16_e32 v16, 0x38b4, v25
	v_add_f16_e32 v33, v1, v7
	v_add_f16_e32 v34, v9, v11
	v_fmac_f16_e32 v21, 0x34f2, v27
	v_fmamk_f16 v19, v25, 0x3b9c, v5
	v_add_f16_e32 v29, v29, v32
	v_fmac_f16_e32 v5, 0xbb9c, v25
	v_add_f16_e32 v25, v33, v9
	v_fma_f16 v32, -0.5, v34, v1
	v_sub_f16_e32 v30, v30, v36
	v_fmac_f16_e32 v16, 0x34f2, v27
	v_add_f16_e32 v27, v7, v13
	v_add_f16_e32 v18, v18, v31
	v_fmac_f16_e32 v19, 0xb8b4, v26
	v_fmac_f16_e32 v5, 0x38b4, v26
	v_add_f16_e32 v25, v25, v11
	v_fmamk_f16 v26, v30, 0x3b9c, v32
	v_sub_f16_e32 v15, v15, v31
	v_sub_f16_e32 v31, v7, v9
	;; [unrolled: 1-line block ×3, first 2 shown]
	v_fmac_f16_e32 v1, -0.5, v27
	v_fmac_f16_e32 v32, 0xbb9c, v30
	v_sub_f16_e32 v7, v9, v7
	v_sub_f16_e32 v9, v11, v13
	v_add_f16_e32 v11, v22, v17
	v_fmac_f16_e32 v19, 0x34f2, v29
	v_fmac_f16_e32 v5, 0x34f2, v29
	v_add_f16_e32 v25, v25, v13
	v_fmac_f16_e32 v26, 0x38b4, v15
	v_add_f16_e32 v27, v31, v33
	v_fmamk_f16 v29, v15, 0xbb9c, v1
	v_fmac_f16_e32 v32, 0xb8b4, v15
	v_add_f16_e32 v7, v7, v9
	v_fmac_f16_e32 v1, 0x3b9c, v15
	v_add_f16_e32 v9, v6, v20
	v_fma_f16 v11, -0.5, v11, v6
	v_sub_f16_e32 v13, v8, v14
	v_fmac_f16_e32 v26, 0x34f2, v27
	v_fmac_f16_e32 v29, 0x38b4, v30
	;; [unrolled: 1-line block ×4, first 2 shown]
	v_add_f16_e32 v9, v9, v22
	v_fmamk_f16 v15, v13, 0xbb9c, v11
	v_sub_f16_e32 v27, v10, v12
	v_sub_f16_e32 v30, v20, v22
	;; [unrolled: 1-line block ×3, first 2 shown]
	v_fmac_f16_e32 v11, 0x3b9c, v13
	v_add_f16_e32 v33, v20, v23
	v_lshrrev_b32_e32 v28, 16, v6
	v_add_f16_e32 v9, v9, v17
	v_fmac_f16_e32 v15, 0xb8b4, v27
	v_add_f16_e32 v30, v30, v31
	v_fmac_f16_e32 v11, 0x38b4, v27
	v_fmac_f16_e32 v6, -0.5, v33
	v_sub_f16_e32 v31, v22, v20
	v_sub_f16_e32 v33, v17, v23
	v_fmac_f16_e32 v29, 0x34f2, v7
	v_fmac_f16_e32 v1, 0x34f2, v7
	v_add_f16_e32 v7, v9, v23
	v_fmac_f16_e32 v15, 0x34f2, v30
	v_fmac_f16_e32 v11, 0x34f2, v30
	v_add_f16_e32 v30, v10, v12
	v_sub_f16_e32 v20, v20, v23
	v_add_f16_e32 v23, v31, v33
	v_add_f16_e32 v31, v8, v14
	v_fmamk_f16 v9, v27, 0x3b9c, v6
	v_fmac_f16_e32 v6, 0xbb9c, v27
	v_add_f16_e32 v27, v28, v8
	v_fma_f16 v30, -0.5, v30, v28
	v_sub_f16_e32 v17, v22, v17
	v_fmac_f16_e32 v28, -0.5, v31
	v_fmac_f16_e32 v9, 0xb8b4, v13
	v_fmac_f16_e32 v6, 0x38b4, v13
	v_add_f16_e32 v13, v27, v10
	v_sub_f16_e32 v22, v8, v10
	v_fmamk_f16 v31, v17, 0xbb9c, v28
	v_sub_f16_e32 v8, v10, v8
	v_sub_f16_e32 v10, v12, v14
	v_fmac_f16_e32 v28, 0x3b9c, v17
	v_fmamk_f16 v27, v20, 0x3b9c, v30
	v_fmac_f16_e32 v9, 0x34f2, v23
	v_fmac_f16_e32 v6, 0x34f2, v23
	v_sub_f16_e32 v23, v14, v12
	v_fmac_f16_e32 v30, 0xbb9c, v20
	v_add_f16_e32 v13, v13, v12
	v_fmac_f16_e32 v31, 0x38b4, v20
	v_add_f16_e32 v8, v8, v10
	v_fmac_f16_e32 v28, 0xb8b4, v20
	v_fmac_f16_e32 v27, 0x38b4, v17
	v_add_f16_e32 v12, v22, v23
	v_fmac_f16_e32 v30, 0xb8b4, v17
	v_add_f16_e32 v18, v18, v36
	v_add_f16_e32 v10, v13, v14
	v_fmac_f16_e32 v31, 0x34f2, v8
	v_fmac_f16_e32 v28, 0x34f2, v8
	v_pack_b32_f16 v8, v21, v26
	v_fmac_f16_e32 v27, 0x34f2, v12
	v_fmac_f16_e32 v30, 0x34f2, v12
	v_pack_b32_f16 v12, v19, v29
	v_pack_b32_f16 v1, v5, v1
	;; [unrolled: 1-line block ×4, first 2 shown]
	ds_write_b32 v48, v8 offset:880
	ds_write_b32 v48, v12 offset:1760
	;; [unrolled: 1-line block ×4, first 2 shown]
	v_pack_b32_f16 v1, v7, v10
	v_pack_b32_f16 v5, v15, v27
	;; [unrolled: 1-line block ×5, first 2 shown]
	ds_write2_b32 v48, v13, v1 offset1:110
	ds_write_b32 v48, v5 offset:1320
	ds_write_b32 v48, v7 offset:2200
	;; [unrolled: 1-line block ×4, first 2 shown]
	s_waitcnt lgkmcnt(0)
	s_barrier
	buffer_gl0_inv
	ds_read2_b32 v[5:6], v48 offset1:110
	s_waitcnt lgkmcnt(0)
	v_lshrrev_b32_e32 v1, 16, v5
	v_mul_f16_sdwa v7, v47, v1 dst_sel:DWORD dst_unused:UNUSED_PAD src0_sel:WORD_1 src1_sel:DWORD
	v_fmac_f16_e32 v7, v47, v5
	v_mul_f16_sdwa v5, v47, v5 dst_sel:DWORD dst_unused:UNUSED_PAD src0_sel:WORD_1 src1_sel:DWORD
	v_cvt_f32_f16_e32 v7, v7
	v_fma_f16 v1, v47, v1, -v5
	v_cvt_f64_f32_e32 v[7:8], v7
	v_cvt_f32_f16_e32 v1, v1
	v_cvt_f64_f32_e32 v[9:10], v1
	ds_read2_b32 v[0:1], v0 offset0:56 offset1:166
	v_mul_f64 v[7:8], v[7:8], s[2:3]
	s_waitcnt lgkmcnt(0)
	v_lshrrev_b32_e32 v17, 16, v1
	v_mul_f64 v[9:10], v[9:10], s[2:3]
	v_mul_f16_sdwa v16, v46, v17 dst_sel:DWORD dst_unused:UNUSED_PAD src0_sel:WORD_1 src1_sel:DWORD
	v_fmac_f16_e32 v16, v46, v1
	v_mul_f16_sdwa v1, v46, v1 dst_sel:DWORD dst_unused:UNUSED_PAD src0_sel:WORD_1 src1_sel:DWORD
	v_fma_f16 v1, v46, v17, -v1
	v_and_or_b32 v5, 0x1ff, v8, v7
	v_lshrrev_b32_e32 v7, 8, v8
	v_bfe_u32 v11, v8, 20, 11
	v_cvt_f32_f16_e32 v1, v1
	v_cmp_ne_u32_e32 vcc_lo, 0, v5
	v_and_or_b32 v9, 0x1ff, v10, v9
	v_lshrrev_b32_e32 v14, 8, v10
	v_bfe_u32 v15, v10, 20, 11
	v_add_nc_u32_e32 v18, 0xfffffc10, v11
	v_cndmask_b32_e64 v5, 0, 1, vcc_lo
	v_cmp_ne_u32_e32 vcc_lo, 0, v9
	v_lshrrev_b32_e32 v10, 16, v10
	v_and_or_b32 v7, 0xffe, v7, v5
	v_sub_nc_u32_e32 v5, 0x3f1, v11
	v_cndmask_b32_e64 v9, 0, 1, vcc_lo
	v_or_b32_e32 v12, 0x1000, v7
	v_med3_i32 v5, v5, 0, 13
	v_and_or_b32 v9, 0xffe, v14, v9
	v_sub_nc_u32_e32 v14, 0x3f1, v15
	v_lshrrev_b32_e32 v13, v5, v12
	v_or_b32_e32 v19, 0x1000, v9
	v_med3_i32 v20, v14, 0, 13
	v_cvt_f32_f16_e32 v14, v16
	v_lshl_or_b32 v16, v18, 12, v7
	v_lshlrev_b32_e32 v5, v5, v13
	v_lshrrev_b32_e32 v21, v20, v19
	v_cmp_ne_u32_e32 vcc_lo, v5, v12
	v_mad_u64_u32 v[11:12], null, s10, v24, 0
	v_cndmask_b32_e64 v5, 0, 1, vcc_lo
	v_cmp_gt_i32_e32 vcc_lo, 1, v18
	v_or_b32_e32 v5, v13, v5
	v_cvt_f64_f32_e32 v[13:14], v14
	v_cndmask_b32_e32 v22, v16, v5, vcc_lo
	v_lshlrev_b32_e32 v16, v20, v21
	v_mov_b32_e32 v5, v12
	v_add_nc_u32_e32 v20, 0xfffffc10, v15
	v_and_b32_e32 v12, 7, v22
	v_cmp_ne_u32_e32 vcc_lo, v16, v19
	v_mad_u64_u32 v[15:16], null, s11, v24, v[5:6]
	v_lshl_or_b32 v16, v20, 12, v9
	v_cmp_eq_u32_e64 s0, 3, v12
	v_cndmask_b32_e64 v19, 0, 1, vcc_lo
	v_cmp_lt_i32_e32 vcc_lo, 5, v12
	v_cmp_gt_i32_e64 s1, 1, v20
	v_or_b32_e32 v5, v21, v19
	v_lshrrev_b32_e32 v19, 2, v22
	s_or_b32 vcc_lo, s0, vcc_lo
	v_mul_f64 v[12:13], v[13:14], s[2:3]
	v_lshrrev_b32_e32 v21, 16, v6
	v_cndmask_b32_e64 v5, v16, v5, s1
	v_add_co_ci_u32_e32 v14, vcc_lo, 0, v19, vcc_lo
	v_cmp_ne_u32_e32 vcc_lo, 0, v7
	v_cmp_eq_u32_e64 s1, 0x40f, v18
	v_and_b32_e32 v16, 7, v5
	v_cndmask_b32_e64 v7, 0, 1, vcc_lo
	v_cmp_gt_i32_e32 vcc_lo, 31, v18
	v_cmp_eq_u32_e64 s0, 3, v16
	v_lshl_or_b32 v7, v7, 9, 0x7c00
	v_cndmask_b32_e32 v14, 0x7c00, v14, vcc_lo
	v_cmp_lt_i32_e32 vcc_lo, 5, v16
	v_cvt_f64_f32_e32 v[16:17], v1
	v_lshrrev_b32_e32 v1, 2, v5
	v_cndmask_b32_e64 v5, v14, v7, s1
	s_or_b32 vcc_lo, s0, vcc_lo
	v_lshrrev_b32_e32 v14, 16, v8
	v_add_co_ci_u32_e32 v1, vcc_lo, 0, v1, vcc_lo
	v_cmp_ne_u32_e32 vcc_lo, 0, v9
	v_and_or_b32 v9, 0x1ff, v13, v12
	v_lshrrev_b32_e32 v18, 8, v13
	v_and_or_b32 v5, 0x8000, v14, v5
	v_mul_f16_sdwa v14, v44, v21 dst_sel:DWORD dst_unused:UNUSED_PAD src0_sel:WORD_1 src1_sel:DWORD
	v_cndmask_b32_e64 v7, 0, 1, vcc_lo
	v_cmp_gt_i32_e32 vcc_lo, 31, v20
	v_and_b32_e32 v5, 0xffff, v5
	v_fmac_f16_e32 v14, v44, v6
	v_lshl_or_b32 v12, v7, 9, 0x7c00
	v_cndmask_b32_e32 v1, 0x7c00, v1, vcc_lo
	v_cmp_ne_u32_e32 vcc_lo, 0, v9
	v_mad_u64_u32 v[7:8], null, s8, v45, 0
	v_mul_f64 v[16:17], v[16:17], s[2:3]
	v_mul_f16_sdwa v6, v44, v6 dst_sel:DWORD dst_unused:UNUSED_PAD src0_sel:WORD_1 src1_sel:DWORD
	v_cndmask_b32_e64 v9, 0, 1, vcc_lo
	v_cmp_eq_u32_e32 vcc_lo, 0x40f, v20
	v_bfe_u32 v20, v13, 20, 11
	v_lshrrev_b32_e32 v13, 16, v13
	v_fma_f16 v6, v44, v21, -v6
	v_and_or_b32 v18, 0xffe, v18, v9
	v_cndmask_b32_e32 v19, v1, v12, vcc_lo
	v_mov_b32_e32 v1, v8
	v_sub_nc_u32_e32 v12, 0x3f1, v20
	v_cvt_f32_f16_e32 v6, v6
	v_and_or_b32 v10, 0x8000, v10, v19
	v_mad_u64_u32 v[8:9], null, s9, v45, v[1:2]
	v_or_b32_e32 v1, 0x1000, v18
	v_med3_i32 v9, v12, 0, 13
	v_mov_b32_e32 v12, v15
	v_lshl_or_b32 v5, v10, 16, v5
	v_lshrrev_b32_e32 v15, v9, v1
	v_lshlrev_b64 v[7:8], 2, v[7:8]
	v_lshlrev_b32_e32 v19, v9, v15
	v_lshlrev_b64 v[9:10], 2, v[11:12]
	v_and_or_b32 v11, 0x1ff, v17, v16
	v_cvt_f32_f16_e32 v12, v14
	v_add_nc_u32_e32 v14, 0xfffffc10, v20
	v_cmp_ne_u32_e32 vcc_lo, v19, v1
	v_lshrrev_b32_e32 v19, 8, v17
	v_bfe_u32 v20, v17, 20, 11
	v_cndmask_b32_e64 v1, 0, 1, vcc_lo
	v_cmp_ne_u32_e32 vcc_lo, 0, v11
	v_cvt_f64_f32_e32 v[11:12], v12
	v_or_b32_e32 v1, v15, v1
	v_cndmask_b32_e64 v16, 0, 1, vcc_lo
	v_add_co_u32 v9, vcc_lo, s4, v9
	v_add_co_ci_u32_e32 v10, vcc_lo, s5, v10, vcc_lo
	v_lshl_or_b32 v15, v14, 12, v18
	v_and_or_b32 v16, 0xffe, v19, v16
	v_sub_nc_u32_e32 v19, 0x3f1, v20
	v_cmp_gt_i32_e32 vcc_lo, 1, v14
	s_mul_hi_u32 s4, s8, 0x898
	s_mul_i32 s5, s8, 0x898
	v_med3_i32 v19, v19, 0, 13
	v_cndmask_b32_e32 v1, v15, v1, vcc_lo
	v_or_b32_e32 v15, 0x1000, v16
	v_add_co_u32 v7, vcc_lo, v9, v7
	v_add_co_ci_u32_e32 v8, vcc_lo, v10, v8, vcc_lo
	v_lshrrev_b32_e32 v22, v19, v15
	v_and_b32_e32 v23, 7, v1
	v_mul_f64 v[9:10], v[11:12], s[2:3]
	global_store_dword v[7:8], v5, off
	v_lshrrev_b32_e32 v1, 2, v1
	v_lshlrev_b32_e32 v5, v19, v22
	v_cmp_lt_i32_e32 vcc_lo, 5, v23
	v_cmp_eq_u32_e64 s0, 3, v23
	v_cmp_ne_u32_e64 s1, v5, v15
	v_add_nc_u32_e32 v15, 0xfffffc10, v20
	s_or_b32 vcc_lo, s0, vcc_lo
	v_add_co_ci_u32_e32 v1, vcc_lo, 0, v1, vcc_lo
	v_cndmask_b32_e64 v5, 0, 1, s1
	v_cmp_ne_u32_e32 vcc_lo, 0, v18
	v_lshl_or_b32 v12, v15, 12, v16
	v_or_b32_e32 v11, v22, v5
	v_cndmask_b32_e64 v18, 0, 1, vcc_lo
	v_cmp_gt_i32_e32 vcc_lo, 1, v15
	v_cvt_f64_f32_e32 v[5:6], v6
	v_and_or_b32 v9, 0x1ff, v10, v9
	v_bfe_u32 v21, v10, 20, 11
	v_lshrrev_b32_e32 v20, 8, v10
	v_cndmask_b32_e32 v19, v12, v11, vcc_lo
	v_cmp_gt_i32_e32 vcc_lo, 31, v14
	v_lshl_or_b32 v11, v18, 9, 0x7c00
	v_lshrrev_b32_e32 v10, 16, v10
	v_and_b32_e32 v18, 7, v19
	v_cndmask_b32_e32 v1, 0x7c00, v1, vcc_lo
	v_cmp_ne_u32_e32 vcc_lo, 0, v9
	v_cmp_eq_u32_e64 s0, 3, v18
	v_cndmask_b32_e64 v9, 0, 1, vcc_lo
	v_cmp_eq_u32_e32 vcc_lo, 0x40f, v14
	v_sub_nc_u32_e32 v14, 0x3f1, v21
	v_and_or_b32 v9, 0xffe, v20, v9
	v_cndmask_b32_e32 v1, v1, v11, vcc_lo
	ds_read2_b32 v[11:12], v4 offset0:20 offset1:130
	v_cmp_lt_i32_e32 vcc_lo, 5, v18
	v_mul_f64 v[4:5], v[5:6], s[2:3]
	v_lshrrev_b32_e32 v18, 2, v19
	v_med3_i32 v6, v14, 0, 13
	v_or_b32_e32 v19, 0x1000, v9
	s_or_b32 vcc_lo, s0, vcc_lo
	v_and_or_b32 v1, 0x8000, v13, v1
	v_add_co_ci_u32_e32 v14, vcc_lo, 0, v18, vcc_lo
	v_cmp_ne_u32_e32 vcc_lo, 0, v16
	v_lshrrev_b32_e32 v18, v6, v19
	v_and_b32_e32 v1, 0xffff, v1
	s_mul_i32 s0, s9, 0x898
	v_cndmask_b32_e64 v16, 0, 1, vcc_lo
	v_cmp_gt_i32_e32 vcc_lo, 31, v15
	v_lshlrev_b32_e32 v6, v6, v18
	s_add_i32 s4, s4, s0
	v_lshl_or_b32 v16, v16, 9, 0x7c00
	v_cndmask_b32_e32 v14, 0x7c00, v14, vcc_lo
	s_waitcnt lgkmcnt(0)
	v_lshrrev_b32_e32 v20, 16, v11
	v_cmp_eq_u32_e32 vcc_lo, 0x40f, v15
	v_and_or_b32 v4, 0x1ff, v5, v4
	v_mul_f16_sdwa v15, v43, v20 dst_sel:DWORD dst_unused:UNUSED_PAD src0_sel:WORD_1 src1_sel:DWORD
	v_cndmask_b32_e32 v13, v14, v16, vcc_lo
	v_cmp_ne_u32_e32 vcc_lo, v6, v19
	v_lshrrev_b32_e32 v14, 16, v17
	v_add_nc_u32_e32 v17, 0xfffffc10, v21
	v_fmac_f16_e32 v15, v43, v11
	v_mul_f16_sdwa v11, v43, v11 dst_sel:DWORD dst_unused:UNUSED_PAD src0_sel:WORD_1 src1_sel:DWORD
	v_cndmask_b32_e64 v6, 0, 1, vcc_lo
	v_cmp_ne_u32_e32 vcc_lo, 0, v4
	v_and_or_b32 v16, 0x8000, v14, v13
	v_cvt_f32_f16_e32 v14, v15
	v_lshrrev_b32_e32 v15, 8, v5
	v_or_b32_e32 v6, v18, v6
	v_cndmask_b32_e64 v4, 0, 1, vcc_lo
	v_bfe_u32 v18, v5, 20, 11
	v_lshl_or_b32 v13, v17, 12, v9
	v_cmp_gt_i32_e32 vcc_lo, 1, v17
	v_lshl_or_b32 v1, v16, 16, v1
	v_and_or_b32 v19, 0xffe, v15, v4
	v_sub_nc_u32_e32 v4, 0x3f1, v18
	v_fma_f16 v11, v43, v20, -v11
	v_cndmask_b32_e32 v6, v13, v6, vcc_lo
	v_cvt_f64_f32_e32 v[13:14], v14
	v_or_b32_e32 v21, 0x1000, v19
	v_med3_i32 v4, v4, 0, 13
	v_cvt_f32_f16_e32 v11, v11
	v_and_b32_e32 v15, 7, v6
	v_lshrrev_b32_e32 v6, 2, v6
	v_add_nc_u32_e32 v18, 0xfffffc10, v18
	v_lshrrev_b32_e32 v16, v4, v21
	v_lshrrev_b32_e32 v5, 16, v5
	v_cmp_lt_i32_e32 vcc_lo, 5, v15
	v_cmp_eq_u32_e64 s0, 3, v15
	v_lshl_or_b32 v20, v18, 12, v19
	v_lshlrev_b32_e32 v4, v4, v16
	s_or_b32 vcc_lo, s0, vcc_lo
	v_add_co_ci_u32_e32 v6, vcc_lo, 0, v6, vcc_lo
	v_cmp_ne_u32_e32 vcc_lo, v4, v21
	v_mul_f64 v[13:14], v[13:14], s[2:3]
	v_cndmask_b32_e64 v4, 0, 1, vcc_lo
	v_cmp_ne_u32_e32 vcc_lo, 0, v9
	v_or_b32_e32 v4, v16, v4
	v_cndmask_b32_e64 v9, 0, 1, vcc_lo
	v_cmp_gt_i32_e32 vcc_lo, 31, v17
	v_cvt_f64_f32_e32 v[15:16], v11
	v_lshl_or_b32 v9, v9, 9, 0x7c00
	v_cndmask_b32_e32 v11, 0x7c00, v6, vcc_lo
	v_cmp_gt_i32_e32 vcc_lo, 1, v18
	v_cndmask_b32_e32 v20, v20, v4, vcc_lo
	v_add_co_u32 v6, vcc_lo, v7, s5
	v_add_co_ci_u32_e32 v7, vcc_lo, s4, v8, vcc_lo
	v_cmp_eq_u32_e32 vcc_lo, 0x40f, v17
	v_and_b32_e32 v8, 7, v20
	ds_read2_b32 v[3:4], v3 offset0:92 offset1:202
	v_cndmask_b32_e32 v11, v11, v9, vcc_lo
	v_and_or_b32 v9, 0x1ff, v14, v13
	v_cmp_lt_i32_e32 vcc_lo, 5, v8
	v_cmp_eq_u32_e64 s0, 3, v8
	v_lshrrev_b32_e32 v13, 2, v20
	v_lshrrev_b32_e32 v20, 8, v14
	v_cmp_ne_u32_e64 s1, 0, v9
	v_mul_f64 v[8:9], v[15:16], s[2:3]
	s_or_b32 vcc_lo, s0, vcc_lo
	v_bfe_u32 v15, v14, 20, 11
	v_add_co_ci_u32_e32 v13, vcc_lo, 0, v13, vcc_lo
	v_cndmask_b32_e64 v17, 0, 1, s1
	v_cmp_ne_u32_e32 vcc_lo, 0, v19
	v_and_or_b32 v10, 0x8000, v10, v11
	s_mul_hi_u32 s0, s8, 0xfffff920
	s_mul_i32 s1, s9, 0xfffff920
	v_and_or_b32 v19, 0xffe, v20, v17
	v_cndmask_b32_e64 v16, 0, 1, vcc_lo
	s_waitcnt lgkmcnt(0)
	v_lshrrev_b32_e32 v20, 16, v3
	v_cmp_gt_i32_e32 vcc_lo, 31, v18
	v_sub_nc_u32_e32 v17, 0x3f1, v15
	v_or_b32_e32 v21, 0x1000, v19
	v_lshl_or_b32 v16, v16, 9, 0x7c00
	v_mul_f16_sdwa v22, v42, v20 dst_sel:DWORD dst_unused:UNUSED_PAD src0_sel:WORD_1 src1_sel:DWORD
	v_cndmask_b32_e32 v13, 0x7c00, v13, vcc_lo
	v_cmp_eq_u32_e32 vcc_lo, 0x40f, v18
	v_med3_i32 v17, v17, 0, 13
	s_sub_i32 s6, s0, s8
	v_and_or_b32 v8, 0x1ff, v9, v8
	v_fmac_f16_e32 v22, v42, v3
	v_cndmask_b32_e32 v13, v13, v16, vcc_lo
	v_lshrrev_b32_e32 v16, v17, v21
	v_lshrrev_b32_e32 v18, 8, v9
	v_cmp_ne_u32_e32 vcc_lo, 0, v8
	v_mul_f16_sdwa v3, v42, v3 dst_sel:DWORD dst_unused:UNUSED_PAD src0_sel:WORD_1 src1_sel:DWORD
	v_and_or_b32 v5, 0x8000, v5, v13
	v_and_b32_e32 v13, 0xffff, v10
	v_cvt_f32_f16_e32 v10, v22
	v_lshlrev_b32_e32 v17, v17, v16
	v_cndmask_b32_e64 v8, 0, 1, vcc_lo
	v_bfe_u32 v22, v9, 20, 11
	v_lshl_or_b32 v5, v5, 16, v13
	v_cvt_f64_f32_e32 v[10:11], v10
	v_cmp_ne_u32_e32 vcc_lo, v17, v21
	v_add_nc_u32_e32 v21, 0xfffffc10, v15
	v_and_or_b32 v8, 0xffe, v18, v8
	v_sub_nc_u32_e32 v15, 0x3f1, v22
	s_add_i32 s6, s6, s1
	v_cndmask_b32_e64 v17, 0, 1, vcc_lo
	v_cmp_gt_i32_e32 vcc_lo, 1, v21
	v_or_b32_e32 v18, 0x1000, v8
	v_med3_i32 v15, v15, 0, 13
	v_fma_f16 v3, v42, v20, -v3
	v_or_b32_e32 v16, v16, v17
	v_lshl_or_b32 v17, v21, 12, v19
	v_add_nc_u32_e32 v20, 0xfffffc10, v22
	v_lshrrev_b32_e32 v23, v15, v18
	v_cvt_f32_f16_e32 v3, v3
	v_cndmask_b32_e32 v17, v17, v16, vcc_lo
	v_lshlrev_b32_e32 v24, v15, v23
	v_add_co_u32 v15, vcc_lo, v6, s7
	v_and_b32_e32 v13, 7, v17
	v_mul_f64 v[10:11], v[10:11], s[2:3]
	v_cmp_ne_u32_e64 s0, v24, v18
	v_add_co_ci_u32_e32 v16, vcc_lo, s6, v7, vcc_lo
	v_cmp_lt_i32_e32 vcc_lo, 5, v13
	global_store_dword v[6:7], v1, off
	global_store_dword v[15:16], v5, off
	v_cndmask_b32_e64 v18, 0, 1, s0
	v_cmp_eq_u32_e64 s0, 3, v13
	v_lshrrev_b32_e32 v13, 2, v17
	v_or_b32_e32 v22, v23, v18
	s_or_b32 vcc_lo, s0, vcc_lo
	v_cvt_f64_f32_e32 v[17:18], v3
	v_add_co_ci_u32_e32 v3, vcc_lo, 0, v13, vcc_lo
	v_cmp_ne_u32_e32 vcc_lo, 0, v19
	v_lshl_or_b32 v23, v20, 12, v8
	v_cndmask_b32_e64 v13, 0, 1, vcc_lo
	v_cmp_gt_i32_e32 vcc_lo, 1, v20
	v_and_or_b32 v10, 0x1ff, v11, v10
	v_bfe_u32 v24, v11, 20, 11
	v_lshl_or_b32 v13, v13, 9, 0x7c00
	v_cndmask_b32_e32 v19, v23, v22, vcc_lo
	v_cmp_gt_i32_e32 vcc_lo, 31, v21
	v_lshrrev_b32_e32 v23, 8, v11
	v_lshrrev_b32_e32 v11, 16, v11
	v_and_b32_e32 v22, 7, v19
	v_cndmask_b32_e32 v3, 0x7c00, v3, vcc_lo
	v_cmp_ne_u32_e32 vcc_lo, 0, v10
	v_cmp_eq_u32_e64 s0, 3, v22
	v_cndmask_b32_e64 v10, 0, 1, vcc_lo
	v_cmp_eq_u32_e32 vcc_lo, 0x40f, v21
	v_lshrrev_b32_e32 v21, 16, v14
	v_and_or_b32 v10, 0xffe, v23, v10
	v_cndmask_b32_e32 v3, v3, v13, vcc_lo
	v_cmp_lt_i32_e32 vcc_lo, 5, v22
	v_mul_f64 v[13:14], v[17:18], s[2:3]
	v_lshrrev_b32_e32 v18, 2, v19
	v_sub_nc_u32_e32 v23, 0x3f1, v24
	v_or_b32_e32 v19, 0x1000, v10
	s_or_b32 vcc_lo, s0, vcc_lo
	v_lshrrev_b32_e32 v17, 16, v12
	v_add_co_ci_u32_e32 v18, vcc_lo, 0, v18, vcc_lo
	v_med3_i32 v22, v23, 0, 13
	v_cmp_ne_u32_e32 vcc_lo, 0, v8
	v_mul_f16_sdwa v23, v41, v17 dst_sel:DWORD dst_unused:UNUSED_PAD src0_sel:WORD_1 src1_sel:DWORD
	v_and_or_b32 v3, 0x8000, v21, v3
	v_lshrrev_b32_e32 v25, v22, v19
	v_cndmask_b32_e64 v8, 0, 1, vcc_lo
	v_cmp_gt_i32_e32 vcc_lo, 31, v20
	v_fmac_f16_e32 v23, v41, v12
	v_and_b32_e32 v3, 0xffff, v3
	v_lshlrev_b32_e32 v21, v22, v25
	v_lshl_or_b32 v8, v8, 9, 0x7c00
	v_cndmask_b32_e32 v18, 0x7c00, v18, vcc_lo
	v_cmp_eq_u32_e32 vcc_lo, 0x40f, v20
	v_and_or_b32 v13, 0x1ff, v14, v13
	v_cvt_f32_f16_e32 v22, v23
	v_lshrrev_b32_e32 v20, 16, v9
	v_bfe_u32 v23, v14, 20, 11
	v_cndmask_b32_e32 v18, v18, v8, vcc_lo
	v_cmp_ne_u32_e32 vcc_lo, v21, v19
	v_cvt_f64_f32_e32 v[8:9], v22
	v_add_nc_u32_e32 v21, 0xfffffc10, v24
	v_lshrrev_b32_e32 v22, 8, v14
	v_and_or_b32 v18, 0x8000, v20, v18
	v_cndmask_b32_e64 v19, 0, 1, vcc_lo
	v_cmp_ne_u32_e32 vcc_lo, 0, v13
	v_lshl_or_b32 v20, v21, 12, v10
	v_mul_f16_sdwa v12, v41, v12 dst_sel:DWORD dst_unused:UNUSED_PAD src0_sel:WORD_1 src1_sel:DWORD
	v_lshl_or_b32 v1, v18, 16, v3
	v_or_b32_e32 v19, v25, v19
	v_cndmask_b32_e64 v13, 0, 1, vcc_lo
	v_cmp_gt_i32_e32 vcc_lo, 1, v21
	v_fma_f16 v12, v41, v17, -v12
	v_lshrrev_b32_e32 v14, 16, v14
	v_and_or_b32 v13, 0xffe, v22, v13
	v_sub_nc_u32_e32 v22, 0x3f1, v23
	v_cndmask_b32_e32 v19, v20, v19, vcc_lo
	v_add_co_u32 v7, vcc_lo, v15, s5
	v_or_b32_e32 v20, 0x1000, v13
	v_med3_i32 v22, v22, 0, 13
	v_and_b32_e32 v3, 7, v19
	v_mul_f64 v[5:6], v[8:9], s[2:3]
	v_add_co_ci_u32_e32 v8, vcc_lo, s4, v16, vcc_lo
	v_lshrrev_b32_e32 v18, v22, v20
	v_cmp_lt_i32_e32 vcc_lo, 5, v3
	v_cmp_eq_u32_e64 s0, 3, v3
	v_lshrrev_b32_e32 v3, 2, v19
	v_cvt_f32_f16_e32 v12, v12
	v_lshlrev_b32_e32 v9, v22, v18
	v_add_nc_u32_e32 v15, 0xfffffc10, v23
	s_or_b32 vcc_lo, s0, vcc_lo
	global_store_dword v[7:8], v1, off
	v_add_co_ci_u32_e32 v3, vcc_lo, 0, v3, vcc_lo
	v_cmp_ne_u32_e64 s1, v9, v20
	v_cmp_ne_u32_e32 vcc_lo, 0, v10
	v_lshl_or_b32 v17, v15, 12, v13
	v_cndmask_b32_e64 v9, 0, 1, s1
	v_and_or_b32 v5, 0x1ff, v6, v5
	v_bfe_u32 v19, v6, 20, 11
	v_or_b32_e32 v16, v18, v9
	v_cvt_f64_f32_e32 v[9:10], v12
	v_cndmask_b32_e64 v18, 0, 1, vcc_lo
	v_cmp_gt_i32_e32 vcc_lo, 1, v15
	v_cndmask_b32_e32 v12, v17, v16, vcc_lo
	v_cmp_gt_i32_e32 vcc_lo, 31, v21
	v_lshl_or_b32 v16, v18, 9, 0x7c00
	v_lshrrev_b32_e32 v18, 8, v6
	v_lshrrev_b32_e32 v6, 16, v6
	v_and_b32_e32 v17, 7, v12
	v_cndmask_b32_e32 v3, 0x7c00, v3, vcc_lo
	v_cmp_ne_u32_e32 vcc_lo, 0, v5
	v_lshrrev_b32_e32 v12, 2, v12
	v_cmp_eq_u32_e64 s0, 3, v17
	v_cndmask_b32_e64 v5, 0, 1, vcc_lo
	v_cmp_eq_u32_e32 vcc_lo, 0x40f, v21
	v_mul_f64 v[9:10], v[9:10], s[2:3]
	v_and_or_b32 v5, 0xffe, v18, v5
	v_cndmask_b32_e32 v3, v3, v16, vcc_lo
	v_cmp_lt_i32_e32 vcc_lo, 5, v17
	v_sub_nc_u32_e32 v16, 0x3f1, v19
	v_lshrrev_b32_e32 v18, 16, v4
	v_or_b32_e32 v17, 0x1000, v5
	v_and_or_b32 v3, 0x8000, v11, v3
	s_or_b32 vcc_lo, s0, vcc_lo
	v_med3_i32 v16, v16, 0, 13
	v_add_co_ci_u32_e32 v12, vcc_lo, 0, v12, vcc_lo
	v_cmp_ne_u32_e32 vcc_lo, 0, v13
	v_mul_f16_sdwa v21, v40, v18 dst_sel:DWORD dst_unused:UNUSED_PAD src0_sel:WORD_1 src1_sel:DWORD
	v_lshrrev_b32_e32 v20, v16, v17
	v_and_b32_e32 v3, 0xffff, v3
	v_cndmask_b32_e64 v13, 0, 1, vcc_lo
	v_cmp_gt_i32_e32 vcc_lo, 31, v15
	v_lshlrev_b32_e32 v11, v16, v20
	v_fmac_f16_e32 v21, v40, v4
	v_and_or_b32 v9, 0x1ff, v10, v9
	v_lshl_or_b32 v13, v13, 9, 0x7c00
	v_cndmask_b32_e32 v12, 0x7c00, v12, vcc_lo
	v_cmp_eq_u32_e32 vcc_lo, 0x40f, v15
	v_add_nc_u32_e32 v16, 0xfffffc10, v19
	v_bfe_u32 v19, v10, 20, 11
	v_mul_f16_sdwa v4, v40, v4 dst_sel:DWORD dst_unused:UNUSED_PAD src0_sel:WORD_1 src1_sel:DWORD
	v_cndmask_b32_e32 v13, v12, v13, vcc_lo
	v_cmp_ne_u32_e32 vcc_lo, v11, v17
	v_cvt_f32_f16_e32 v12, v21
	v_lshrrev_b32_e32 v17, 8, v10
	v_fma_f16 v4, v40, v18, -v4
	v_and_or_b32 v13, 0x8000, v14, v13
	v_cndmask_b32_e64 v15, 0, 1, vcc_lo
	v_cmp_ne_u32_e32 vcc_lo, 0, v9
	v_cvt_f64_f32_e32 v[11:12], v12
	v_lshrrev_b32_e32 v10, 16, v10
	v_lshl_or_b32 v1, v13, 16, v3
	v_or_b32_e32 v14, v20, v15
	v_lshl_or_b32 v15, v16, 12, v5
	v_cndmask_b32_e64 v9, 0, 1, vcc_lo
	v_cmp_gt_i32_e32 vcc_lo, 1, v16
	v_and_or_b32 v9, 0xffe, v17, v9
	v_cndmask_b32_e32 v14, v15, v14, vcc_lo
	v_sub_nc_u32_e32 v15, 0x3f1, v19
	v_add_co_u32 v7, vcc_lo, v7, s7
	v_or_b32_e32 v13, 0x1000, v9
	v_and_b32_e32 v3, 7, v14
	v_med3_i32 v15, v15, 0, 13
	v_add_co_ci_u32_e32 v8, vcc_lo, s6, v8, vcc_lo
	v_cmp_lt_i32_e32 vcc_lo, 5, v3
	v_lshrrev_b32_e32 v17, v15, v13
	v_cmp_eq_u32_e64 s0, 3, v3
	v_mul_f64 v[11:12], v[11:12], s[2:3]
	global_store_dword v[7:8], v1, off
	v_lshrrev_b32_e32 v1, 2, v14
	v_lshlrev_b32_e32 v3, v15, v17
	s_or_b32 vcc_lo, s0, vcc_lo
	v_add_nc_u32_e32 v15, 0xfffffc10, v19
	v_add_co_u32 v7, s1, v7, s5
	v_add_co_ci_u32_e32 v14, vcc_lo, 0, v1, vcc_lo
	v_cmp_ne_u32_e32 vcc_lo, v3, v13
	v_cvt_f32_f16_e32 v3, v4
	ds_read2_b32 v[1:2], v2 offset0:112 offset1:222
	v_add_co_ci_u32_e64 v8, s1, s4, v8, s1
	v_cndmask_b32_e64 v13, 0, 1, vcc_lo
	v_cmp_ne_u32_e32 vcc_lo, 0, v5
	v_cvt_f64_f32_e32 v[3:4], v3
	v_or_b32_e32 v13, v17, v13
	v_cndmask_b32_e64 v5, 0, 1, vcc_lo
	v_cmp_gt_i32_e32 vcc_lo, 31, v16
	v_lshl_or_b32 v17, v15, 12, v9
	v_and_or_b32 v11, 0x1ff, v12, v11
	v_bfe_u32 v18, v12, 20, 11
	v_lshl_or_b32 v5, v5, 9, 0x7c00
	v_cndmask_b32_e32 v14, 0x7c00, v14, vcc_lo
	v_cmp_gt_i32_e32 vcc_lo, 1, v15
	v_cndmask_b32_e32 v13, v17, v13, vcc_lo
	v_cmp_ne_u32_e32 vcc_lo, 0, v11
	v_lshrrev_b32_e32 v17, 8, v12
	v_lshrrev_b32_e32 v12, 16, v12
	v_cndmask_b32_e64 v11, 0, 1, vcc_lo
	v_cmp_eq_u32_e32 vcc_lo, 0x40f, v16
	v_sub_nc_u32_e32 v16, 0x3f1, v18
	v_mul_f64 v[3:4], v[3:4], s[2:3]
	v_and_or_b32 v11, 0xffe, v17, v11
	v_cndmask_b32_e32 v5, v14, v5, vcc_lo
	v_and_b32_e32 v14, 7, v13
	s_waitcnt lgkmcnt(0)
	v_lshrrev_b32_e32 v17, 16, v1
	v_med3_i32 v16, v16, 0, 13
	v_or_b32_e32 v19, 0x1000, v11
	v_cmp_lt_i32_e32 vcc_lo, 5, v14
	v_cmp_eq_u32_e64 s0, 3, v14
	v_and_or_b32 v14, 0x8000, v6, v5
	v_lshrrev_b32_e32 v5, 2, v13
	v_mul_f16_sdwa v20, v39, v17 dst_sel:DWORD dst_unused:UNUSED_PAD src0_sel:WORD_1 src1_sel:DWORD
	v_lshrrev_b32_e32 v13, v16, v19
	s_or_b32 vcc_lo, s0, vcc_lo
	v_and_b32_e32 v14, 0xffff, v14
	v_add_co_ci_u32_e32 v5, vcc_lo, 0, v5, vcc_lo
	v_cmp_ne_u32_e32 vcc_lo, 0, v9
	v_fmac_f16_e32 v20, v39, v1
	v_lshlrev_b32_e32 v16, v16, v13
	v_and_or_b32 v3, 0x1ff, v4, v3
	v_mul_f16_sdwa v1, v39, v1 dst_sel:DWORD dst_unused:UNUSED_PAD src0_sel:WORD_1 src1_sel:DWORD
	v_cndmask_b32_e64 v6, 0, 1, vcc_lo
	v_cmp_gt_i32_e32 vcc_lo, 31, v15
	v_cvt_f32_f16_e32 v9, v20
	v_fma_f16 v1, v39, v17, -v1
	v_lshl_or_b32 v21, v6, 9, 0x7c00
	v_cndmask_b32_e32 v20, 0x7c00, v5, vcc_lo
	v_cmp_ne_u32_e32 vcc_lo, v16, v19
	v_cvt_f64_f32_e32 v[5:6], v9
	v_add_nc_u32_e32 v16, 0xfffffc10, v18
	v_lshrrev_b32_e32 v18, 8, v4
	v_bfe_u32 v19, v4, 20, 11
	v_cndmask_b32_e64 v9, 0, 1, vcc_lo
	v_cmp_eq_u32_e32 vcc_lo, 0x40f, v15
	v_cvt_f32_f16_e32 v1, v1
	v_or_b32_e32 v9, v13, v9
	v_cndmask_b32_e32 v15, v20, v21, vcc_lo
	v_cmp_ne_u32_e32 vcc_lo, 0, v3
	v_lshl_or_b32 v13, v16, 12, v11
	v_and_or_b32 v10, 0x8000, v10, v15
	v_cndmask_b32_e64 v3, 0, 1, vcc_lo
	v_cmp_gt_i32_e32 vcc_lo, 1, v16
	v_lshl_or_b32 v14, v10, 16, v14
	v_and_or_b32 v3, 0xffe, v18, v3
	v_cndmask_b32_e32 v9, v13, v9, vcc_lo
	v_sub_nc_u32_e32 v13, 0x3f1, v19
	v_mul_f64 v[5:6], v[5:6], s[2:3]
	v_or_b32_e32 v18, 0x1000, v3
	v_and_b32_e32 v15, 7, v9
	v_med3_i32 v13, v13, 0, 13
	v_lshrrev_b32_e32 v9, 2, v9
	v_cmp_lt_i32_e32 vcc_lo, 5, v15
	v_cmp_eq_u32_e64 s0, 3, v15
	v_lshrrev_b32_e32 v15, v13, v18
	s_or_b32 vcc_lo, s0, vcc_lo
	v_lshlrev_b32_e32 v10, v13, v15
	v_add_co_ci_u32_e32 v13, vcc_lo, 0, v9, vcc_lo
	v_cmp_ne_u32_e32 vcc_lo, v10, v18
	v_cvt_f64_f32_e32 v[9:10], v1
	v_and_or_b32 v5, 0x1ff, v6, v5
	v_add_nc_u32_e32 v1, 0xfffffc10, v19
	v_lshrrev_b32_e32 v18, 8, v6
	v_cndmask_b32_e64 v17, 0, 1, vcc_lo
	v_cmp_gt_i32_e32 vcc_lo, 31, v16
	v_bfe_u32 v19, v6, 20, 11
	v_or_b32_e32 v15, v15, v17
	v_cndmask_b32_e32 v13, 0x7c00, v13, vcc_lo
	v_cmp_ne_u32_e32 vcc_lo, 0, v5
	v_lshl_or_b32 v17, v1, 12, v3
	v_cndmask_b32_e64 v5, 0, 1, vcc_lo
	v_cmp_ne_u32_e32 vcc_lo, 0, v11
	v_and_or_b32 v5, 0xffe, v18, v5
	v_cndmask_b32_e64 v11, 0, 1, vcc_lo
	v_cmp_gt_i32_e32 vcc_lo, 1, v1
	v_lshrrev_b32_e32 v18, 16, v0
	v_mul_f64 v[9:10], v[9:10], s[2:3]
	v_or_b32_e32 v21, 0x1000, v5
	v_lshl_or_b32 v11, v11, 9, 0x7c00
	v_cndmask_b32_e32 v15, v17, v15, vcc_lo
	v_sub_nc_u32_e32 v17, 0x3f1, v19
	v_cmp_eq_u32_e32 vcc_lo, 0x40f, v16
	v_mul_f16_sdwa v22, v38, v18 dst_sel:DWORD dst_unused:UNUSED_PAD src0_sel:WORD_1 src1_sel:DWORD
	v_add_nc_u32_e32 v19, 0xfffffc10, v19
	v_and_b32_e32 v20, 7, v15
	v_med3_i32 v17, v17, 0, 13
	v_cndmask_b32_e32 v11, v13, v11, vcc_lo
	v_fmac_f16_e32 v22, v38, v0
	v_mul_f16_sdwa v0, v38, v0 dst_sel:DWORD dst_unused:UNUSED_PAD src0_sel:WORD_1 src1_sel:DWORD
	v_cmp_lt_i32_e32 vcc_lo, 5, v20
	v_lshrrev_b32_e32 v13, v17, v21
	v_cmp_eq_u32_e64 s0, 3, v20
	v_and_or_b32 v16, 0x8000, v12, v11
	v_lshrrev_b32_e32 v11, 2, v15
	v_cvt_f32_f16_e32 v15, v22
	v_lshlrev_b32_e32 v12, v17, v13
	s_or_b32 vcc_lo, s0, vcc_lo
	v_fma_f16 v0, v38, v18, -v0
	v_add_co_ci_u32_e32 v17, vcc_lo, 0, v11, vcc_lo
	v_cmp_ne_u32_e32 vcc_lo, v12, v21
	v_cvt_f64_f32_e32 v[11:12], v15
	v_lshl_or_b32 v15, v19, 12, v5
	v_and_or_b32 v9, 0x1ff, v10, v9
	v_cvt_f32_f16_e32 v0, v0
	v_cndmask_b32_e64 v20, 0, 1, vcc_lo
	v_cmp_ne_u32_e32 vcc_lo, 0, v3
	v_lshrrev_b32_e32 v18, 16, v2
	v_or_b32_e32 v13, v13, v20
	v_cndmask_b32_e64 v3, 0, 1, vcc_lo
	v_cmp_gt_i32_e32 vcc_lo, 31, v1
	v_bfe_u32 v20, v10, 20, 11
	v_mul_f16_sdwa v22, v37, v18 dst_sel:DWORD dst_unused:UNUSED_PAD src0_sel:WORD_1 src1_sel:DWORD
	v_lshl_or_b32 v3, v3, 9, 0x7c00
	v_cndmask_b32_e32 v17, 0x7c00, v17, vcc_lo
	v_cmp_gt_i32_e32 vcc_lo, 1, v19
	v_fmac_f16_e32 v22, v37, v2
	v_mul_f16_sdwa v2, v37, v2 dst_sel:DWORD dst_unused:UNUSED_PAD src0_sel:WORD_1 src1_sel:DWORD
	v_cndmask_b32_e32 v13, v15, v13, vcc_lo
	v_cmp_ne_u32_e32 vcc_lo, 0, v9
	v_lshrrev_b32_e32 v15, 8, v10
	v_fma_f16 v2, v37, v18, -v2
	v_and_b32_e32 v21, 7, v13
	v_cndmask_b32_e64 v9, 0, 1, vcc_lo
	v_cmp_eq_u32_e32 vcc_lo, 0x40f, v1
	v_lshrrev_b32_e32 v13, 2, v13
	v_cvt_f32_f16_e32 v2, v2
	v_cmp_eq_u32_e64 s0, 3, v21
	v_and_or_b32 v9, 0xffe, v15, v9
	v_sub_nc_u32_e32 v15, 0x3f1, v20
	v_cndmask_b32_e32 v1, v17, v3, vcc_lo
	v_cmp_lt_i32_e32 vcc_lo, 5, v21
	v_lshrrev_b32_e32 v17, 16, v4
	v_mul_f64 v[3:4], v[11:12], s[2:3]
	v_or_b32_e32 v11, 0x1000, v9
	v_med3_i32 v12, v15, 0, 13
	s_or_b32 vcc_lo, s0, vcc_lo
	v_and_or_b32 v1, 0x8000, v17, v1
	v_add_co_ci_u32_e32 v13, vcc_lo, 0, v13, vcc_lo
	v_and_b32_e32 v15, 0xffff, v16
	v_lshrrev_b32_e32 v16, v12, v11
	v_cmp_ne_u32_e32 vcc_lo, 0, v5
	v_lshl_or_b32 v15, v1, 16, v15
	v_lshlrev_b32_e32 v1, v12, v16
	v_cndmask_b32_e64 v5, 0, 1, vcc_lo
	v_cmp_gt_i32_e32 vcc_lo, 31, v19
	v_lshl_or_b32 v5, v5, 9, 0x7c00
	v_cndmask_b32_e32 v12, 0x7c00, v13, vcc_lo
	v_cmp_ne_u32_e32 vcc_lo, v1, v11
	v_and_or_b32 v3, 0x1ff, v4, v3
	v_add_nc_u32_e32 v13, 0xfffffc10, v20
	v_bfe_u32 v17, v4, 20, 11
	v_cndmask_b32_e64 v1, 0, 1, vcc_lo
	v_cmp_eq_u32_e32 vcc_lo, 0x40f, v19
	v_lshrrev_b32_e32 v19, 16, v6
	v_cndmask_b32_e32 v11, v12, v5, vcc_lo
	v_cmp_ne_u32_e32 vcc_lo, 0, v3
	v_or_b32_e32 v5, v16, v1
	v_lshrrev_b32_e32 v16, 8, v4
	v_lshl_or_b32 v12, v13, 12, v9
	v_cvt_f64_f32_e32 v[0:1], v0
	v_cndmask_b32_e64 v3, 0, 1, vcc_lo
	v_cmp_gt_i32_e32 vcc_lo, 1, v13
	v_and_or_b32 v19, 0x8000, v19, v11
	v_lshrrev_b32_e32 v4, 16, v4
	v_and_or_b32 v16, 0xffe, v16, v3
	v_sub_nc_u32_e32 v3, 0x3f1, v17
	v_cndmask_b32_e32 v12, v12, v5, vcc_lo
	v_add_co_u32 v5, vcc_lo, v7, s7
	v_or_b32_e32 v21, 0x1000, v16
	v_med3_i32 v3, v3, 0, 13
	v_and_b32_e32 v20, 7, v12
	v_add_co_ci_u32_e32 v6, vcc_lo, s6, v8, vcc_lo
	v_lshrrev_b32_e32 v11, 2, v12
	v_lshrrev_b32_e32 v23, v3, v21
	v_cmp_lt_i32_e32 vcc_lo, 5, v20
	v_cmp_eq_u32_e64 s0, 3, v20
	v_cvt_f32_f16_e32 v12, v22
	v_add_nc_u32_e32 v17, 0xfffffc10, v17
	v_lshlrev_b32_e32 v3, v3, v23
	v_mul_f64 v[0:1], v[0:1], s[2:3]
	s_or_b32 vcc_lo, s0, vcc_lo
	v_add_co_ci_u32_e32 v20, vcc_lo, 0, v11, vcc_lo
	v_cmp_ne_u32_e32 vcc_lo, v3, v21
	v_cvt_f64_f32_e32 v[11:12], v12
	v_lshl_or_b32 v21, v17, 12, v16
	v_cndmask_b32_e64 v3, 0, 1, vcc_lo
	v_cmp_ne_u32_e32 vcc_lo, 0, v9
	v_or_b32_e32 v3, v23, v3
	v_cndmask_b32_e64 v9, 0, 1, vcc_lo
	v_cmp_gt_i32_e32 vcc_lo, 31, v13
	v_lshl_or_b32 v9, v9, 9, 0x7c00
	v_cndmask_b32_e32 v18, 0x7c00, v20, vcc_lo
	v_cmp_gt_i32_e32 vcc_lo, 1, v17
	v_and_or_b32 v0, 0x1ff, v1, v0
	v_cndmask_b32_e32 v20, v21, v3, vcc_lo
	v_cmp_eq_u32_e32 vcc_lo, 0x40f, v13
	v_cvt_f64_f32_e32 v[2:3], v2
	v_and_b32_e32 v21, 7, v20
	v_cndmask_b32_e32 v13, v18, v9, vcc_lo
	v_lshrrev_b32_e32 v18, 16, v10
	v_mul_f64 v[9:10], v[11:12], s[2:3]
	v_cmp_ne_u32_e32 vcc_lo, 0, v0
	v_lshrrev_b32_e32 v11, 8, v1
	v_bfe_u32 v12, v1, 20, 11
	v_and_or_b32 v13, 0x8000, v18, v13
	v_and_b32_e32 v18, 0xffff, v19
	v_cndmask_b32_e64 v0, 0, 1, vcc_lo
	v_cmp_lt_i32_e32 vcc_lo, 5, v21
	v_cmp_eq_u32_e64 s0, 3, v21
	v_lshrrev_b32_e32 v1, 16, v1
	v_lshl_or_b32 v13, v13, 16, v18
	v_lshrrev_b32_e32 v18, 2, v20
	v_and_or_b32 v0, 0xffe, v11, v0
	v_sub_nc_u32_e32 v11, 0x3f1, v12
	s_or_b32 vcc_lo, s0, vcc_lo
	v_add_nc_u32_e32 v12, 0xfffffc10, v12
	v_add_co_ci_u32_e32 v18, vcc_lo, 0, v18, vcc_lo
	v_or_b32_e32 v19, 0x1000, v0
	v_med3_i32 v11, v11, 0, 13
	v_cmp_ne_u32_e32 vcc_lo, 0, v16
	v_mul_f64 v[2:3], v[2:3], s[2:3]
	v_and_or_b32 v9, 0x1ff, v10, v9
	v_lshrrev_b32_e32 v21, 8, v10
	v_lshrrev_b32_e32 v20, v11, v19
	v_cndmask_b32_e64 v16, 0, 1, vcc_lo
	v_cmp_gt_i32_e32 vcc_lo, 31, v17
	v_bfe_u32 v22, v10, 20, 11
	v_lshrrev_b32_e32 v10, 16, v10
	v_lshlrev_b32_e32 v11, v11, v20
	v_lshl_or_b32 v16, v16, 9, 0x7c00
	v_cndmask_b32_e32 v18, 0x7c00, v18, vcc_lo
	v_cmp_ne_u32_e32 vcc_lo, 0, v9
	v_cndmask_b32_e64 v9, 0, 1, vcc_lo
	v_cmp_ne_u32_e32 vcc_lo, v11, v19
	v_sub_nc_u32_e32 v19, 0x3f1, v22
	v_and_or_b32 v9, 0xffe, v21, v9
	v_cndmask_b32_e64 v11, 0, 1, vcc_lo
	v_cmp_eq_u32_e32 vcc_lo, 0x40f, v17
	v_lshl_or_b32 v17, v12, 12, v0
	v_med3_i32 v19, v19, 0, 13
	v_and_or_b32 v2, 0x1ff, v3, v2
	v_or_b32_e32 v11, v20, v11
	v_cndmask_b32_e32 v16, v18, v16, vcc_lo
	v_or_b32_e32 v18, 0x1000, v9
	v_cmp_gt_i32_e32 vcc_lo, 1, v12
	v_lshrrev_b32_e32 v20, 8, v3
	v_bfe_u32 v21, v3, 20, 11
	v_and_or_b32 v4, 0x8000, v4, v16
	v_lshrrev_b32_e32 v3, 16, v3
	v_cndmask_b32_e32 v11, v17, v11, vcc_lo
	v_lshrrev_b32_e32 v17, v19, v18
	v_cmp_ne_u32_e32 vcc_lo, 0, v2
	v_sub_nc_u32_e32 v16, 0x3f1, v21
	v_and_b32_e32 v4, 0xffff, v4
	v_and_b32_e32 v23, 7, v11
	v_lshlrev_b32_e32 v19, v19, v17
	v_cndmask_b32_e64 v2, 0, 1, vcc_lo
	v_lshrrev_b32_e32 v11, 2, v11
	v_med3_i32 v16, v16, 0, 13
	v_cmp_lt_i32_e32 vcc_lo, 5, v23
	v_cmp_ne_u32_e64 s0, v19, v18
	v_and_or_b32 v2, 0xffe, v20, v2
	v_add_nc_u32_e32 v20, 0xfffffc10, v22
	v_cndmask_b32_e64 v18, 0, 1, s0
	v_cmp_eq_u32_e64 s0, 3, v23
	v_or_b32_e32 v19, 0x1000, v2
	v_lshl_or_b32 v22, v20, 12, v9
	v_or_b32_e32 v17, v17, v18
	s_or_b32 vcc_lo, s0, vcc_lo
	v_lshrrev_b32_e32 v18, v16, v19
	v_add_co_ci_u32_e32 v11, vcc_lo, 0, v11, vcc_lo
	v_cmp_gt_i32_e32 vcc_lo, 1, v20
	v_lshlrev_b32_e32 v16, v16, v18
	v_cndmask_b32_e32 v17, v22, v17, vcc_lo
	v_cmp_ne_u32_e32 vcc_lo, 0, v0
	v_cndmask_b32_e64 v0, 0, 1, vcc_lo
	v_cmp_ne_u32_e32 vcc_lo, v16, v19
	v_add_nc_u32_e32 v19, 0xfffffc10, v21
	v_and_b32_e32 v21, 7, v17
	v_lshl_or_b32 v0, v0, 9, 0x7c00
	v_cndmask_b32_e64 v16, 0, 1, vcc_lo
	v_cmp_gt_i32_e32 vcc_lo, 31, v12
	v_cmp_gt_i32_e64 s1, 1, v19
	v_cmp_eq_u32_e64 s0, 3, v21
	v_or_b32_e32 v16, v18, v16
	v_lshl_or_b32 v18, v19, 12, v2
	v_cndmask_b32_e32 v11, 0x7c00, v11, vcc_lo
	v_cmp_lt_i32_e32 vcc_lo, 5, v21
	v_cndmask_b32_e64 v16, v18, v16, s1
	v_cmp_eq_u32_e64 s1, 0x40f, v12
	s_or_b32 vcc_lo, s0, vcc_lo
	v_and_b32_e32 v12, 7, v16
	v_cndmask_b32_e64 v0, v11, v0, s1
	v_lshrrev_b32_e32 v11, 2, v17
	v_cmp_gt_i32_e64 s1, 31, v20
	v_cmp_eq_u32_e64 s0, 3, v12
	v_add_co_ci_u32_e32 v11, vcc_lo, 0, v11, vcc_lo
	v_cmp_ne_u32_e32 vcc_lo, 0, v9
	v_cndmask_b32_e64 v11, 0x7c00, v11, s1
	v_cndmask_b32_e64 v9, 0, 1, vcc_lo
	v_cmp_lt_i32_e32 vcc_lo, 5, v12
	v_lshrrev_b32_e32 v12, 2, v16
	v_lshl_or_b32 v9, v9, 9, 0x7c00
	s_or_b32 vcc_lo, s0, vcc_lo
	v_add_co_ci_u32_e32 v12, vcc_lo, 0, v12, vcc_lo
	v_cmp_ne_u32_e32 vcc_lo, 0, v2
	v_cndmask_b32_e64 v2, 0, 1, vcc_lo
	v_cmp_eq_u32_e32 vcc_lo, 0x40f, v20
	v_lshl_or_b32 v2, v2, 9, 0x7c00
	v_cndmask_b32_e32 v9, v11, v9, vcc_lo
	v_cmp_gt_i32_e32 vcc_lo, 31, v19
	v_and_or_b32 v9, 0x8000, v10, v9
	v_cndmask_b32_e32 v11, 0x7c00, v12, vcc_lo
	v_cmp_eq_u32_e32 vcc_lo, 0x40f, v19
	v_and_or_b32 v12, 0x8000, v1, v0
	v_and_b32_e32 v9, 0xffff, v9
	v_cndmask_b32_e32 v2, v11, v2, vcc_lo
	v_add_co_u32 v0, vcc_lo, v5, s5
	v_add_co_ci_u32_e32 v1, vcc_lo, s4, v6, vcc_lo
	v_and_or_b32 v10, 0x8000, v3, v2
	v_add_co_u32 v2, vcc_lo, v0, s7
	v_add_co_ci_u32_e32 v3, vcc_lo, s6, v1, vcc_lo
	v_lshl_or_b32 v11, v10, 16, v9
	v_add_co_u32 v9, vcc_lo, v2, s5
	v_lshl_or_b32 v4, v12, 16, v4
	v_add_co_ci_u32_e32 v10, vcc_lo, s4, v3, vcc_lo
	global_store_dword v[7:8], v14, off
	global_store_dword v[5:6], v15, off
	;; [unrolled: 1-line block ×5, first 2 shown]
.LBB0_10:
	s_endpgm
	.section	.rodata,"a",@progbits
	.p2align	6, 0x0
	.amdhsa_kernel bluestein_single_fwd_len1100_dim1_half_op_CI_CI
		.amdhsa_group_segment_fixed_size 4400
		.amdhsa_private_segment_fixed_size 0
		.amdhsa_kernarg_size 104
		.amdhsa_user_sgpr_count 6
		.amdhsa_user_sgpr_private_segment_buffer 1
		.amdhsa_user_sgpr_dispatch_ptr 0
		.amdhsa_user_sgpr_queue_ptr 0
		.amdhsa_user_sgpr_kernarg_segment_ptr 1
		.amdhsa_user_sgpr_dispatch_id 0
		.amdhsa_user_sgpr_flat_scratch_init 0
		.amdhsa_user_sgpr_private_segment_size 0
		.amdhsa_wavefront_size32 1
		.amdhsa_uses_dynamic_stack 0
		.amdhsa_system_sgpr_private_segment_wavefront_offset 0
		.amdhsa_system_sgpr_workgroup_id_x 1
		.amdhsa_system_sgpr_workgroup_id_y 0
		.amdhsa_system_sgpr_workgroup_id_z 0
		.amdhsa_system_sgpr_workgroup_info 0
		.amdhsa_system_vgpr_workitem_id 0
		.amdhsa_next_free_vgpr 137
		.amdhsa_next_free_sgpr 20
		.amdhsa_reserve_vcc 1
		.amdhsa_reserve_flat_scratch 0
		.amdhsa_float_round_mode_32 0
		.amdhsa_float_round_mode_16_64 0
		.amdhsa_float_denorm_mode_32 3
		.amdhsa_float_denorm_mode_16_64 3
		.amdhsa_dx10_clamp 1
		.amdhsa_ieee_mode 1
		.amdhsa_fp16_overflow 0
		.amdhsa_workgroup_processor_mode 1
		.amdhsa_memory_ordered 1
		.amdhsa_forward_progress 0
		.amdhsa_shared_vgpr_count 0
		.amdhsa_exception_fp_ieee_invalid_op 0
		.amdhsa_exception_fp_denorm_src 0
		.amdhsa_exception_fp_ieee_div_zero 0
		.amdhsa_exception_fp_ieee_overflow 0
		.amdhsa_exception_fp_ieee_underflow 0
		.amdhsa_exception_fp_ieee_inexact 0
		.amdhsa_exception_int_div_zero 0
	.end_amdhsa_kernel
	.text
.Lfunc_end0:
	.size	bluestein_single_fwd_len1100_dim1_half_op_CI_CI, .Lfunc_end0-bluestein_single_fwd_len1100_dim1_half_op_CI_CI
                                        ; -- End function
	.section	.AMDGPU.csdata,"",@progbits
; Kernel info:
; codeLenInByte = 18896
; NumSgprs: 22
; NumVgprs: 137
; ScratchSize: 0
; MemoryBound: 0
; FloatMode: 240
; IeeeMode: 1
; LDSByteSize: 4400 bytes/workgroup (compile time only)
; SGPRBlocks: 2
; VGPRBlocks: 17
; NumSGPRsForWavesPerEU: 22
; NumVGPRsForWavesPerEU: 137
; Occupancy: 7
; WaveLimiterHint : 1
; COMPUTE_PGM_RSRC2:SCRATCH_EN: 0
; COMPUTE_PGM_RSRC2:USER_SGPR: 6
; COMPUTE_PGM_RSRC2:TRAP_HANDLER: 0
; COMPUTE_PGM_RSRC2:TGID_X_EN: 1
; COMPUTE_PGM_RSRC2:TGID_Y_EN: 0
; COMPUTE_PGM_RSRC2:TGID_Z_EN: 0
; COMPUTE_PGM_RSRC2:TIDIG_COMP_CNT: 0
	.text
	.p2alignl 6, 3214868480
	.fill 48, 4, 3214868480
	.type	__hip_cuid_4e263f58b1fab38f,@object ; @__hip_cuid_4e263f58b1fab38f
	.section	.bss,"aw",@nobits
	.globl	__hip_cuid_4e263f58b1fab38f
__hip_cuid_4e263f58b1fab38f:
	.byte	0                               ; 0x0
	.size	__hip_cuid_4e263f58b1fab38f, 1

	.ident	"AMD clang version 19.0.0git (https://github.com/RadeonOpenCompute/llvm-project roc-6.4.0 25133 c7fe45cf4b819c5991fe208aaa96edf142730f1d)"
	.section	".note.GNU-stack","",@progbits
	.addrsig
	.addrsig_sym __hip_cuid_4e263f58b1fab38f
	.amdgpu_metadata
---
amdhsa.kernels:
  - .args:
      - .actual_access:  read_only
        .address_space:  global
        .offset:         0
        .size:           8
        .value_kind:     global_buffer
      - .actual_access:  read_only
        .address_space:  global
        .offset:         8
        .size:           8
        .value_kind:     global_buffer
      - .actual_access:  read_only
        .address_space:  global
        .offset:         16
        .size:           8
        .value_kind:     global_buffer
      - .actual_access:  read_only
        .address_space:  global
        .offset:         24
        .size:           8
        .value_kind:     global_buffer
      - .actual_access:  read_only
        .address_space:  global
        .offset:         32
        .size:           8
        .value_kind:     global_buffer
      - .offset:         40
        .size:           8
        .value_kind:     by_value
      - .address_space:  global
        .offset:         48
        .size:           8
        .value_kind:     global_buffer
      - .address_space:  global
        .offset:         56
        .size:           8
        .value_kind:     global_buffer
      - .address_space:  global
        .offset:         64
        .size:           8
        .value_kind:     global_buffer
      - .address_space:  global
        .offset:         72
        .size:           8
        .value_kind:     global_buffer
      - .offset:         80
        .size:           4
        .value_kind:     by_value
      - .address_space:  global
        .offset:         88
        .size:           8
        .value_kind:     global_buffer
      - .address_space:  global
        .offset:         96
        .size:           8
        .value_kind:     global_buffer
    .group_segment_fixed_size: 4400
    .kernarg_segment_align: 8
    .kernarg_segment_size: 104
    .language:       OpenCL C
    .language_version:
      - 2
      - 0
    .max_flat_workgroup_size: 110
    .name:           bluestein_single_fwd_len1100_dim1_half_op_CI_CI
    .private_segment_fixed_size: 0
    .sgpr_count:     22
    .sgpr_spill_count: 0
    .symbol:         bluestein_single_fwd_len1100_dim1_half_op_CI_CI.kd
    .uniform_work_group_size: 1
    .uses_dynamic_stack: false
    .vgpr_count:     137
    .vgpr_spill_count: 0
    .wavefront_size: 32
    .workgroup_processor_mode: 1
amdhsa.target:   amdgcn-amd-amdhsa--gfx1030
amdhsa.version:
  - 1
  - 2
...

	.end_amdgpu_metadata
